;; amdgpu-corpus repo=ROCm/rocFFT kind=compiled arch=gfx906 opt=O3
	.text
	.amdgcn_target "amdgcn-amd-amdhsa--gfx906"
	.amdhsa_code_object_version 6
	.protected	fft_rtc_fwd_len1122_factors_17_11_6_wgs_204_tpt_102_halfLds_dp_ip_CI_unitstride_sbrr_dirReg ; -- Begin function fft_rtc_fwd_len1122_factors_17_11_6_wgs_204_tpt_102_halfLds_dp_ip_CI_unitstride_sbrr_dirReg
	.globl	fft_rtc_fwd_len1122_factors_17_11_6_wgs_204_tpt_102_halfLds_dp_ip_CI_unitstride_sbrr_dirReg
	.p2align	8
	.type	fft_rtc_fwd_len1122_factors_17_11_6_wgs_204_tpt_102_halfLds_dp_ip_CI_unitstride_sbrr_dirReg,@function
fft_rtc_fwd_len1122_factors_17_11_6_wgs_204_tpt_102_halfLds_dp_ip_CI_unitstride_sbrr_dirReg: ; @fft_rtc_fwd_len1122_factors_17_11_6_wgs_204_tpt_102_halfLds_dp_ip_CI_unitstride_sbrr_dirReg
; %bb.0:
	s_load_dwordx2 s[12:13], s[4:5], 0x50
	s_load_dwordx4 s[8:11], s[4:5], 0x0
	s_load_dwordx2 s[2:3], s[4:5], 0x18
	v_mul_u32_u24_e32 v1, 0x283, v0
	v_lshrrev_b32_e32 v122, 16, v1
	v_mov_b32_e32 v3, 0
	s_waitcnt lgkmcnt(0)
	v_cmp_lt_u64_e64 s[0:1], s[10:11], 2
	v_mov_b32_e32 v1, 0
	v_lshl_add_u32 v5, s6, 1, v122
	v_mov_b32_e32 v6, v3
	s_and_b64 vcc, exec, s[0:1]
	v_mov_b32_e32 v2, 0
	s_cbranch_vccnz .LBB0_8
; %bb.1:
	s_load_dwordx2 s[0:1], s[4:5], 0x10
	s_add_u32 s6, s2, 8
	s_addc_u32 s7, s3, 0
	v_mov_b32_e32 v1, 0
	v_mov_b32_e32 v2, 0
	s_waitcnt lgkmcnt(0)
	s_add_u32 s14, s0, 8
	s_addc_u32 s15, s1, 0
	s_mov_b64 s[16:17], 1
.LBB0_2:                                ; =>This Inner Loop Header: Depth=1
	s_load_dwordx2 s[18:19], s[14:15], 0x0
                                        ; implicit-def: $vgpr7_vgpr8
	s_waitcnt lgkmcnt(0)
	v_or_b32_e32 v4, s19, v6
	v_cmp_ne_u64_e32 vcc, 0, v[3:4]
	s_and_saveexec_b64 s[0:1], vcc
	s_xor_b64 s[20:21], exec, s[0:1]
	s_cbranch_execz .LBB0_4
; %bb.3:                                ;   in Loop: Header=BB0_2 Depth=1
	v_cvt_f32_u32_e32 v4, s18
	v_cvt_f32_u32_e32 v7, s19
	s_sub_u32 s0, 0, s18
	s_subb_u32 s1, 0, s19
	v_mac_f32_e32 v4, 0x4f800000, v7
	v_rcp_f32_e32 v4, v4
	v_mul_f32_e32 v4, 0x5f7ffffc, v4
	v_mul_f32_e32 v7, 0x2f800000, v4
	v_trunc_f32_e32 v7, v7
	v_mac_f32_e32 v4, 0xcf800000, v7
	v_cvt_u32_f32_e32 v7, v7
	v_cvt_u32_f32_e32 v4, v4
	v_mul_lo_u32 v8, s0, v7
	v_mul_hi_u32 v9, s0, v4
	v_mul_lo_u32 v11, s1, v4
	v_mul_lo_u32 v10, s0, v4
	v_add_u32_e32 v8, v9, v8
	v_add_u32_e32 v8, v8, v11
	v_mul_hi_u32 v9, v4, v10
	v_mul_lo_u32 v11, v4, v8
	v_mul_hi_u32 v13, v4, v8
	v_mul_hi_u32 v12, v7, v10
	v_mul_lo_u32 v10, v7, v10
	v_mul_hi_u32 v14, v7, v8
	v_add_co_u32_e32 v9, vcc, v9, v11
	v_addc_co_u32_e32 v11, vcc, 0, v13, vcc
	v_mul_lo_u32 v8, v7, v8
	v_add_co_u32_e32 v9, vcc, v9, v10
	v_addc_co_u32_e32 v9, vcc, v11, v12, vcc
	v_addc_co_u32_e32 v10, vcc, 0, v14, vcc
	v_add_co_u32_e32 v8, vcc, v9, v8
	v_addc_co_u32_e32 v9, vcc, 0, v10, vcc
	v_add_co_u32_e32 v4, vcc, v4, v8
	v_addc_co_u32_e32 v7, vcc, v7, v9, vcc
	v_mul_lo_u32 v8, s0, v7
	v_mul_hi_u32 v9, s0, v4
	v_mul_lo_u32 v10, s1, v4
	v_mul_lo_u32 v11, s0, v4
	v_add_u32_e32 v8, v9, v8
	v_add_u32_e32 v8, v8, v10
	v_mul_lo_u32 v12, v4, v8
	v_mul_hi_u32 v13, v4, v11
	v_mul_hi_u32 v14, v4, v8
	;; [unrolled: 1-line block ×3, first 2 shown]
	v_mul_lo_u32 v11, v7, v11
	v_mul_hi_u32 v9, v7, v8
	v_add_co_u32_e32 v12, vcc, v13, v12
	v_addc_co_u32_e32 v13, vcc, 0, v14, vcc
	v_mul_lo_u32 v8, v7, v8
	v_add_co_u32_e32 v11, vcc, v12, v11
	v_addc_co_u32_e32 v10, vcc, v13, v10, vcc
	v_addc_co_u32_e32 v9, vcc, 0, v9, vcc
	v_add_co_u32_e32 v8, vcc, v10, v8
	v_addc_co_u32_e32 v9, vcc, 0, v9, vcc
	v_add_co_u32_e32 v4, vcc, v4, v8
	v_addc_co_u32_e32 v9, vcc, v7, v9, vcc
	v_mad_u64_u32 v[7:8], s[0:1], v5, v9, 0
	v_mul_hi_u32 v10, v5, v4
	v_add_co_u32_e32 v11, vcc, v10, v7
	v_addc_co_u32_e32 v12, vcc, 0, v8, vcc
	v_mad_u64_u32 v[7:8], s[0:1], v6, v4, 0
	v_mad_u64_u32 v[9:10], s[0:1], v6, v9, 0
	v_add_co_u32_e32 v4, vcc, v11, v7
	v_addc_co_u32_e32 v4, vcc, v12, v8, vcc
	v_addc_co_u32_e32 v7, vcc, 0, v10, vcc
	v_add_co_u32_e32 v4, vcc, v4, v9
	v_addc_co_u32_e32 v9, vcc, 0, v7, vcc
	v_mul_lo_u32 v10, s19, v4
	v_mul_lo_u32 v11, s18, v9
	v_mad_u64_u32 v[7:8], s[0:1], s18, v4, 0
	v_add3_u32 v8, v8, v11, v10
	v_sub_u32_e32 v10, v6, v8
	v_mov_b32_e32 v11, s19
	v_sub_co_u32_e32 v7, vcc, v5, v7
	v_subb_co_u32_e64 v10, s[0:1], v10, v11, vcc
	v_subrev_co_u32_e64 v11, s[0:1], s18, v7
	v_subbrev_co_u32_e64 v10, s[0:1], 0, v10, s[0:1]
	v_cmp_le_u32_e64 s[0:1], s19, v10
	v_cndmask_b32_e64 v12, 0, -1, s[0:1]
	v_cmp_le_u32_e64 s[0:1], s18, v11
	v_cndmask_b32_e64 v11, 0, -1, s[0:1]
	v_cmp_eq_u32_e64 s[0:1], s19, v10
	v_cndmask_b32_e64 v10, v12, v11, s[0:1]
	v_add_co_u32_e64 v11, s[0:1], 2, v4
	v_addc_co_u32_e64 v12, s[0:1], 0, v9, s[0:1]
	v_add_co_u32_e64 v13, s[0:1], 1, v4
	v_addc_co_u32_e64 v14, s[0:1], 0, v9, s[0:1]
	v_subb_co_u32_e32 v8, vcc, v6, v8, vcc
	v_cmp_ne_u32_e64 s[0:1], 0, v10
	v_cmp_le_u32_e32 vcc, s19, v8
	v_cndmask_b32_e64 v10, v14, v12, s[0:1]
	v_cndmask_b32_e64 v12, 0, -1, vcc
	v_cmp_le_u32_e32 vcc, s18, v7
	v_cndmask_b32_e64 v7, 0, -1, vcc
	v_cmp_eq_u32_e32 vcc, s19, v8
	v_cndmask_b32_e32 v7, v12, v7, vcc
	v_cmp_ne_u32_e32 vcc, 0, v7
	v_cndmask_b32_e64 v7, v13, v11, s[0:1]
	v_cndmask_b32_e32 v8, v9, v10, vcc
	v_cndmask_b32_e32 v7, v4, v7, vcc
.LBB0_4:                                ;   in Loop: Header=BB0_2 Depth=1
	s_andn2_saveexec_b64 s[0:1], s[20:21]
	s_cbranch_execz .LBB0_6
; %bb.5:                                ;   in Loop: Header=BB0_2 Depth=1
	v_cvt_f32_u32_e32 v4, s18
	s_sub_i32 s20, 0, s18
	v_rcp_iflag_f32_e32 v4, v4
	v_mul_f32_e32 v4, 0x4f7ffffe, v4
	v_cvt_u32_f32_e32 v4, v4
	v_mul_lo_u32 v7, s20, v4
	v_mul_hi_u32 v7, v4, v7
	v_add_u32_e32 v4, v4, v7
	v_mul_hi_u32 v4, v5, v4
	v_mul_lo_u32 v7, v4, s18
	v_add_u32_e32 v8, 1, v4
	v_sub_u32_e32 v7, v5, v7
	v_subrev_u32_e32 v9, s18, v7
	v_cmp_le_u32_e32 vcc, s18, v7
	v_cndmask_b32_e32 v7, v7, v9, vcc
	v_cndmask_b32_e32 v4, v4, v8, vcc
	v_add_u32_e32 v8, 1, v4
	v_cmp_le_u32_e32 vcc, s18, v7
	v_cndmask_b32_e32 v7, v4, v8, vcc
	v_mov_b32_e32 v8, v3
.LBB0_6:                                ;   in Loop: Header=BB0_2 Depth=1
	s_or_b64 exec, exec, s[0:1]
	v_mul_lo_u32 v4, v8, s18
	v_mul_lo_u32 v11, v7, s19
	v_mad_u64_u32 v[9:10], s[0:1], v7, s18, 0
	s_load_dwordx2 s[0:1], s[6:7], 0x0
	s_add_u32 s16, s16, 1
	v_add3_u32 v4, v10, v11, v4
	v_sub_co_u32_e32 v5, vcc, v5, v9
	v_subb_co_u32_e32 v4, vcc, v6, v4, vcc
	s_waitcnt lgkmcnt(0)
	v_mul_lo_u32 v4, s0, v4
	v_mul_lo_u32 v6, s1, v5
	v_mad_u64_u32 v[1:2], s[0:1], s0, v5, v[1:2]
	s_addc_u32 s17, s17, 0
	s_add_u32 s6, s6, 8
	v_add3_u32 v2, v6, v2, v4
	v_mov_b32_e32 v4, s10
	v_mov_b32_e32 v5, s11
	s_addc_u32 s7, s7, 0
	v_cmp_ge_u64_e32 vcc, s[16:17], v[4:5]
	s_add_u32 s14, s14, 8
	s_addc_u32 s15, s15, 0
	s_cbranch_vccnz .LBB0_9
; %bb.7:                                ;   in Loop: Header=BB0_2 Depth=1
	v_mov_b32_e32 v5, v7
	v_mov_b32_e32 v6, v8
	s_branch .LBB0_2
.LBB0_8:
	v_mov_b32_e32 v8, v6
	v_mov_b32_e32 v7, v5
.LBB0_9:
	s_lshl_b64 s[0:1], s[10:11], 3
	s_add_u32 s0, s2, s0
	s_addc_u32 s1, s3, s1
	s_load_dwordx2 s[2:3], s[0:1], 0x0
	s_load_dwordx2 s[6:7], s[4:5], 0x20
                                        ; implicit-def: $vgpr12_vgpr13
                                        ; implicit-def: $vgpr16_vgpr17
                                        ; implicit-def: $vgpr20_vgpr21
                                        ; implicit-def: $vgpr24_vgpr25
                                        ; implicit-def: $vgpr28_vgpr29
                                        ; implicit-def: $vgpr32_vgpr33
                                        ; implicit-def: $vgpr36_vgpr37
                                        ; implicit-def: $vgpr40_vgpr41
                                        ; implicit-def: $vgpr44_vgpr45
                                        ; implicit-def: $vgpr52_vgpr53
                                        ; implicit-def: $vgpr64_vgpr65
                                        ; implicit-def: $vgpr68_vgpr69
                                        ; implicit-def: $vgpr72_vgpr73
                                        ; implicit-def: $vgpr48_vgpr49
                                        ; implicit-def: $vgpr60_vgpr61
                                        ; implicit-def: $vgpr56_vgpr57
	s_waitcnt lgkmcnt(0)
	v_mad_u64_u32 v[1:2], s[0:1], s2, v7, v[1:2]
	s_mov_b32 s0, 0x2828283
	v_mul_lo_u32 v3, s2, v8
	v_mul_lo_u32 v4, s3, v7
	v_mul_hi_u32 v5, v0, s0
	v_cmp_gt_u64_e64 s[0:1], s[6:7], v[7:8]
	s_movk_i32 s2, 0x42
	v_add3_u32 v2, v4, v2, v3
	v_mul_u32_u24_e32 v3, 0x66, v5
	v_sub_u32_e32 v94, v0, v3
	v_cmp_gt_u32_e64 s[2:3], s2, v94
	v_lshlrev_b64 v[96:97], 4, v[1:2]
	s_and_b64 s[6:7], s[0:1], s[2:3]
                                        ; implicit-def: $vgpr8_vgpr9
	s_and_saveexec_b64 s[4:5], s[6:7]
	s_cbranch_execz .LBB0_11
; %bb.10:
	v_mov_b32_e32 v95, 0
	v_mov_b32_e32 v0, s13
	v_add_co_u32_e32 v2, vcc, s12, v96
	v_addc_co_u32_e32 v3, vcc, v0, v97, vcc
	v_lshlrev_b64 v[0:1], 4, v[94:95]
	s_movk_i32 s6, 0x1000
	v_add_co_u32_e32 v0, vcc, v2, v0
	v_addc_co_u32_e32 v1, vcc, v3, v1, vcc
	v_add_co_u32_e32 v2, vcc, s6, v0
	v_addc_co_u32_e32 v3, vcc, 0, v1, vcc
	s_movk_i32 s6, 0x2000
	v_add_co_u32_e32 v4, vcc, s6, v0
	v_addc_co_u32_e32 v5, vcc, 0, v1, vcc
	s_movk_i32 s6, 0x3000
	v_add_co_u32_e32 v74, vcc, s6, v0
	v_addc_co_u32_e32 v75, vcc, 0, v1, vcc
	global_load_dwordx4 v[6:9], v[0:1], off
	global_load_dwordx4 v[54:57], v[0:1], off offset:1056
	global_load_dwordx4 v[58:61], v[0:1], off offset:2112
	;; [unrolled: 1-line block ×3, first 2 shown]
	v_add_co_u32_e32 v0, vcc, 0x4000, v0
	v_addc_co_u32_e32 v1, vcc, 0, v1, vcc
	global_load_dwordx4 v[70:73], v[2:3], off offset:128
	global_load_dwordx4 v[66:69], v[2:3], off offset:1184
	;; [unrolled: 1-line block ×13, first 2 shown]
.LBB0_11:
	s_or_b64 exec, exec, s[4:5]
	s_waitcnt vmcnt(0)
	v_add_f64 v[0:1], v[10:11], v[54:55]
	s_mov_b32 s4, 0x6ed5f1bb
	s_mov_b32 s5, 0xbfe348c8
	v_add_f64 v[74:75], v[56:57], -v[12:13]
	v_add_f64 v[4:5], v[14:15], v[58:59]
	s_mov_b32 s20, 0x6c9a05f6
	s_mov_b32 s6, 0xc61f0d01
	;; [unrolled: 1-line block ×3, first 2 shown]
	v_mul_f64 v[106:107], v[0:1], s[4:5]
	s_mov_b32 s7, 0xbfd183b1
	v_add_f64 v[78:79], v[60:61], -v[16:17]
	v_add_f64 v[76:77], v[18:19], v[46:47]
	v_mul_f64 v[112:113], v[4:5], s[6:7]
	s_mov_b32 s24, 0x923c349f
	s_mov_b32 s10, 0x370991
	;; [unrolled: 1-line block ×3, first 2 shown]
	v_fma_f64 v[2:3], v[74:75], s[20:21], v[106:107]
	s_mov_b32 s11, 0x3fedd6d0
	v_add_f64 v[82:83], v[48:49], -v[20:21]
	v_add_f64 v[80:81], v[22:23], v[70:71]
	v_mul_f64 v[116:117], v[76:77], s[10:11]
	v_fma_f64 v[88:89], v[78:79], s[24:25], v[112:113]
	s_mov_b32 s26, 0x5d8e7cdc
	s_mov_b32 s14, 0x910ea3b9
	v_add_f64 v[2:3], v[6:7], v[2:3]
	s_mov_b32 s27, 0xbfd71e95
	s_mov_b32 s15, 0xbfeb34fa
	v_add_f64 v[86:87], v[72:73], -v[24:25]
	v_add_f64 v[84:85], v[26:27], v[66:67]
	v_mul_f64 v[120:121], v[80:81], s[14:15]
	v_fma_f64 v[90:91], v[82:83], s[26:27], v[116:117]
	s_mov_b32 s30, 0x4363dd80
	v_add_f64 v[2:3], v[88:89], v[2:3]
	s_mov_b32 s16, 0x3259b75e
	s_mov_b32 s31, 0xbfe0d888
	;; [unrolled: 1-line block ×3, first 2 shown]
	v_add_f64 v[88:89], v[30:31], v[62:63]
	v_add_f64 v[98:99], v[68:69], -v[28:29]
	v_mul_f64 v[110:111], v[84:85], s[16:17]
	v_fma_f64 v[100:101], v[86:87], s[30:31], v[120:121]
	v_add_f64 v[2:3], v[90:91], v[2:3]
	s_mov_b32 s18, 0x75d4884
	s_mov_b32 s34, 0xeb564b22
	;; [unrolled: 1-line block ×4, first 2 shown]
	v_add_f64 v[92:93], v[64:65], -v[32:33]
	v_mul_f64 v[108:109], v[88:89], s[18:19]
	v_add_f64 v[90:91], v[34:35], v[50:51]
	v_add_f64 v[2:3], v[100:101], v[2:3]
	v_fma_f64 v[100:101], v[98:99], s[34:35], v[110:111]
	s_mov_b32 s36, 0x2a9d6da3
	s_mov_b32 s22, 0x7faef3
	;; [unrolled: 1-line block ×4, first 2 shown]
	v_fma_f64 v[104:105], v[92:93], s[36:37], v[108:109]
	v_add_f64 v[102:103], v[52:53], -v[36:37]
	v_mul_f64 v[114:115], v[90:91], s[22:23]
	v_add_f64 v[2:3], v[100:101], v[2:3]
	v_add_f64 v[100:101], v[38:39], v[42:43]
	s_mov_b32 s38, 0xacd6c6b4
	s_mov_b32 s28, 0x2b2883cd
	;; [unrolled: 1-line block ×5, first 2 shown]
	v_fma_f64 v[123:124], v[102:103], s[38:39], v[114:115]
	v_add_f64 v[2:3], v[104:105], v[2:3]
	v_add_f64 v[104:105], v[44:45], -v[40:41]
	v_mul_f64 v[118:119], v[100:101], s[28:29]
	s_mov_b32 s41, 0x3feca52d
	v_and_b32_e32 v95, 1, v122
	v_mov_b32_e32 v122, 0x462
	v_cmp_eq_u32_e32 vcc, 1, v95
	v_cndmask_b32_e32 v95, 0, v122, vcc
	v_add_f64 v[2:3], v[123:124], v[2:3]
	v_lshlrev_b32_e32 v95, 3, v95
	v_fma_f64 v[123:124], v[104:105], s[40:41], v[118:119]
	v_add_f64 v[2:3], v[123:124], v[2:3]
	s_and_saveexec_b64 s[42:43], s[2:3]
	s_cbranch_execz .LBB0_13
; %bb.12:
	v_mul_f64 v[122:123], v[74:75], s[38:39]
	v_mul_f64 v[124:125], v[74:75], s[30:31]
	s_mov_b32 s45, 0x3fd71e95
	s_mov_b32 s44, s26
	v_mul_f64 v[126:127], v[78:79], s[40:41]
	v_mul_f64 v[130:131], v[78:79], s[44:45]
	s_mov_b32 s47, 0xbfefdd0d
	s_mov_b32 s46, s34
	v_fma_f64 v[132:133], v[0:1], s[22:23], v[122:123]
	v_fma_f64 v[122:123], v[0:1], s[22:23], -v[122:123]
	v_fma_f64 v[134:135], v[0:1], s[14:15], v[124:125]
	v_mul_f64 v[128:129], v[82:83], s[30:31]
	v_mul_f64 v[136:137], v[82:83], s[46:47]
	v_fma_f64 v[138:139], v[4:5], s[28:29], v[126:127]
	v_fma_f64 v[140:141], v[4:5], s[10:11], v[130:131]
	v_fma_f64 v[130:131], v[4:5], s[10:11], -v[130:131]
	v_add_f64 v[132:133], v[6:7], v[132:133]
	v_add_f64 v[122:123], v[6:7], v[122:123]
	;; [unrolled: 1-line block ×3, first 2 shown]
	s_mov_b32 s49, 0x3fe58eea
	s_mov_b32 s48, s36
	;; [unrolled: 1-line block ×4, first 2 shown]
	v_fma_f64 v[142:143], v[76:77], s[14:15], v[128:129]
	v_fma_f64 v[128:129], v[76:77], s[14:15], -v[128:129]
	v_fma_f64 v[144:145], v[76:77], s[16:17], v[136:137]
	v_add_f64 v[132:133], v[140:141], v[132:133]
	v_add_f64 v[122:123], v[130:131], v[122:123]
	;; [unrolled: 1-line block ×3, first 2 shown]
	v_mul_f64 v[134:135], v[86:87], s[48:49]
	v_mul_f64 v[138:139], v[86:87], s[56:57]
	v_fma_f64 v[124:125], v[0:1], s[14:15], -v[124:125]
	s_mov_b32 s51, 0xbfeec746
	s_mov_b32 s50, s24
	v_add_f64 v[132:133], v[142:143], v[132:133]
	v_add_f64 v[122:123], v[128:129], v[122:123]
	v_add_f64 v[128:129], v[144:145], v[130:131]
	v_fma_f64 v[130:131], v[80:81], s[18:19], v[134:135]
	v_fma_f64 v[134:135], v[80:81], s[18:19], -v[134:135]
	v_fma_f64 v[140:141], v[80:81], s[4:5], v[138:139]
	v_mul_f64 v[142:143], v[98:99], s[20:21]
	v_mul_f64 v[144:145], v[98:99], s[26:27]
	;; [unrolled: 1-line block ×4, first 2 shown]
	v_fma_f64 v[126:127], v[4:5], s[28:29], -v[126:127]
	v_add_f64 v[130:131], v[130:131], v[132:133]
	v_add_f64 v[122:123], v[134:135], v[122:123]
	;; [unrolled: 1-line block ×3, first 2 shown]
	v_fma_f64 v[132:133], v[84:85], s[4:5], v[142:143]
	v_fma_f64 v[134:135], v[84:85], s[4:5], -v[142:143]
	v_fma_f64 v[140:141], v[84:85], s[10:11], v[144:145]
	v_mul_f64 v[142:143], v[92:93], s[40:41]
	v_add_f64 v[124:125], v[6:7], v[124:125]
	s_mov_b32 s53, 0x3fe0d888
	s_mov_b32 s52, s30
	;; [unrolled: 1-line block ×3, first 2 shown]
	v_add_f64 v[130:131], v[132:133], v[130:131]
	v_add_f64 v[122:123], v[134:135], v[122:123]
	v_add_f64 v[128:129], v[140:141], v[128:129]
	v_fma_f64 v[132:133], v[88:89], s[28:29], v[142:143]
	v_mul_f64 v[140:141], v[74:75], s[20:21]
	v_fma_f64 v[134:135], v[88:89], s[28:29], -v[142:143]
	v_fma_f64 v[142:143], v[88:89], s[22:23], v[146:147]
	v_add_f64 v[124:125], v[126:127], v[124:125]
	v_fma_f64 v[126:127], v[76:77], s[16:17], -v[136:137]
	s_mov_b32 s54, s40
	v_mul_f64 v[150:151], v[82:83], s[20:21]
	v_add_f64 v[130:131], v[132:133], v[130:131]
	v_mul_f64 v[132:133], v[78:79], s[24:25]
	v_add_f64 v[106:107], v[106:107], -v[140:141]
	v_add_f64 v[122:123], v[134:135], v[122:123]
	v_fma_f64 v[134:135], v[90:91], s[6:7], v[148:149]
	v_mul_f64 v[140:141], v[82:83], s[26:27]
	v_add_f64 v[128:129], v[142:143], v[128:129]
	v_mul_f64 v[142:143], v[104:105], s[34:35]
	v_add_f64 v[124:125], v[126:127], v[124:125]
	v_add_f64 v[112:113], v[112:113], -v[132:133]
	v_add_f64 v[106:107], v[6:7], v[106:107]
	v_mul_f64 v[132:133], v[102:103], s[48:49]
	v_add_f64 v[130:131], v[134:135], v[130:131]
	v_mul_f64 v[134:135], v[86:87], s[30:31]
	v_add_f64 v[116:117], v[116:117], -v[140:141]
	v_fma_f64 v[126:127], v[80:81], s[4:5], -v[138:139]
	v_fma_f64 v[140:141], v[100:101], s[16:17], v[142:143]
	v_mul_f64 v[138:139], v[102:103], s[38:39]
	v_add_f64 v[106:107], v[112:113], v[106:107]
	v_fma_f64 v[112:113], v[90:91], s[6:7], -v[148:149]
	v_fma_f64 v[136:137], v[90:91], s[18:19], v[132:133]
	v_add_f64 v[120:121], v[120:121], -v[134:135]
	v_mul_f64 v[134:135], v[98:99], s[34:35]
	v_add_f64 v[124:125], v[126:127], v[124:125]
	v_fma_f64 v[126:127], v[84:85], s[10:11], -v[144:145]
	v_add_f64 v[114:115], v[114:115], -v[138:139]
	v_add_f64 v[116:117], v[116:117], v[106:107]
	v_add_f64 v[112:113], v[112:113], v[122:123]
	;; [unrolled: 1-line block ×3, first 2 shown]
	v_mul_f64 v[128:129], v[74:75], s[50:51]
	v_add_f64 v[106:107], v[140:141], v[130:131]
	v_add_f64 v[110:111], v[110:111], -v[134:135]
	v_mul_f64 v[134:135], v[78:79], s[52:53]
	v_fma_f64 v[136:137], v[100:101], s[16:17], -v[142:143]
	v_add_f64 v[116:117], v[120:121], v[116:117]
	v_mul_f64 v[120:121], v[92:93], s[36:37]
	v_add_f64 v[124:125], v[126:127], v[124:125]
	v_fma_f64 v[130:131], v[0:1], s[6:7], v[128:129]
	v_fma_f64 v[126:127], v[88:89], s[22:23], -v[146:147]
	v_mul_f64 v[140:141], v[82:83], s[48:49]
	v_mul_f64 v[138:139], v[78:79], s[38:39]
	;; [unrolled: 1-line block ×3, first 2 shown]
	v_add_f64 v[110:111], v[110:111], v[116:117]
	v_add_f64 v[120:121], v[108:109], -v[120:121]
	v_add_f64 v[108:109], v[136:137], v[112:113]
	v_add_f64 v[116:117], v[6:7], v[130:131]
	v_fma_f64 v[130:131], v[4:5], s[14:15], v[134:135]
	v_add_f64 v[112:113], v[126:127], v[124:125]
	v_fma_f64 v[124:125], v[90:91], s[18:19], -v[132:133]
	v_mul_f64 v[126:127], v[104:105], s[40:41]
	v_fma_f64 v[132:133], v[4:5], s[14:15], -v[134:135]
	v_add_f64 v[110:111], v[120:121], v[110:111]
	v_fma_f64 v[120:121], v[76:77], s[18:19], v[140:141]
	v_mul_f64 v[146:147], v[78:79], s[46:47]
	v_add_f64 v[116:117], v[130:131], v[116:117]
	v_mul_f64 v[130:131], v[86:87], s[54:55]
	v_add_f64 v[112:113], v[124:125], v[112:113]
	v_fma_f64 v[124:125], v[0:1], s[6:7], -v[128:129]
	v_add_f64 v[118:119], v[118:119], -v[126:127]
	v_mul_f64 v[126:127], v[104:105], s[50:51]
	v_add_f64 v[110:111], v[114:115], v[110:111]
	v_mul_f64 v[114:115], v[74:75], s[46:47]
	v_add_f64 v[116:117], v[120:121], v[116:117]
	v_fma_f64 v[120:121], v[80:81], s[28:29], v[130:131]
	v_mul_f64 v[128:129], v[98:99], s[38:39]
	v_add_f64 v[124:125], v[6:7], v[124:125]
	v_mul_f64 v[148:149], v[92:93], s[26:27]
	v_fma_f64 v[134:135], v[100:101], s[6:7], v[126:127]
	v_fma_f64 v[126:127], v[100:101], s[6:7], -v[126:127]
	v_fma_f64 v[136:137], v[0:1], s[16:17], v[114:115]
	v_add_f64 v[110:111], v[118:119], v[110:111]
	v_add_f64 v[116:117], v[120:121], v[116:117]
	v_fma_f64 v[120:121], v[84:85], s[22:23], v[128:129]
	v_add_f64 v[124:125], v[132:133], v[124:125]
	v_fma_f64 v[132:133], v[76:77], s[18:19], -v[140:141]
	v_add_f64 v[122:123], v[134:135], v[122:123]
	v_mul_f64 v[140:141], v[82:83], s[24:25]
	v_add_f64 v[134:135], v[6:7], v[136:137]
	v_fma_f64 v[136:137], v[4:5], s[22:23], v[138:139]
	v_add_f64 v[112:113], v[126:127], v[112:113]
	v_add_f64 v[116:117], v[120:121], v[116:117]
	v_fma_f64 v[120:121], v[88:89], s[16:17], v[142:143]
	v_add_f64 v[124:125], v[132:133], v[124:125]
	v_fma_f64 v[126:127], v[80:81], s[28:29], -v[130:131]
	v_mul_f64 v[130:131], v[102:103], s[26:27]
	v_fma_f64 v[114:115], v[0:1], s[16:17], -v[114:115]
	v_add_f64 v[132:133], v[136:137], v[134:135]
	v_fma_f64 v[134:135], v[76:77], s[6:7], v[140:141]
	v_mul_f64 v[136:137], v[86:87], s[44:45]
	v_add_f64 v[116:117], v[120:121], v[116:117]
	v_fma_f64 v[120:121], v[84:85], s[22:23], -v[128:129]
	v_add_f64 v[118:119], v[126:127], v[124:125]
	v_fma_f64 v[124:125], v[90:91], s[10:11], v[130:131]
	v_add_f64 v[114:115], v[6:7], v[114:115]
	v_fma_f64 v[130:131], v[90:91], s[10:11], -v[130:131]
	v_add_f64 v[126:127], v[134:135], v[132:133]
	v_fma_f64 v[134:135], v[4:5], s[22:23], -v[138:139]
	v_mul_f64 v[138:139], v[104:105], s[20:21]
	v_fma_f64 v[128:129], v[80:81], s[10:11], v[136:137]
	v_add_f64 v[118:119], v[120:121], v[118:119]
	v_fma_f64 v[120:121], v[88:89], s[16:17], -v[142:143]
	v_add_f64 v[116:117], v[124:125], v[116:117]
	v_mul_f64 v[132:133], v[98:99], s[54:55]
	v_mul_f64 v[142:143], v[102:103], s[56:57]
	v_add_f64 v[114:115], v[134:135], v[114:115]
	v_fma_f64 v[134:135], v[76:77], s[6:7], -v[140:141]
	v_fma_f64 v[140:141], v[100:101], s[4:5], v[138:139]
	s_mov_b32 s57, 0x3fc7851a
	v_add_f64 v[118:119], v[120:121], v[118:119]
	v_mul_f64 v[120:121], v[74:75], s[54:55]
	s_mov_b32 s56, s38
	v_add_f64 v[124:125], v[128:129], v[126:127]
	v_fma_f64 v[126:127], v[84:85], s[28:29], v[132:133]
	v_add_f64 v[114:115], v[134:135], v[114:115]
	v_fma_f64 v[134:135], v[80:81], s[10:11], -v[136:137]
	v_add_f64 v[116:117], v[140:141], v[116:117]
	v_mul_f64 v[140:141], v[78:79], s[20:21]
	v_fma_f64 v[136:137], v[0:1], s[28:29], v[120:121]
	v_mul_f64 v[128:129], v[92:93], s[30:31]
	v_fma_f64 v[132:133], v[84:85], s[28:29], -v[132:133]
	v_mul_f64 v[144:145], v[82:83], s[56:57]
	v_add_f64 v[124:125], v[126:127], v[124:125]
	v_add_f64 v[114:115], v[134:135], v[114:115]
	;; [unrolled: 1-line block ×3, first 2 shown]
	v_mul_f64 v[130:131], v[104:105], s[48:49]
	v_add_f64 v[134:135], v[6:7], v[136:137]
	v_fma_f64 v[136:137], v[4:5], s[4:5], v[140:141]
	v_fma_f64 v[126:127], v[88:89], s[14:15], v[128:129]
	v_fma_f64 v[128:129], v[88:89], s[14:15], -v[128:129]
	v_fma_f64 v[138:139], v[100:101], s[4:5], -v[138:139]
	v_add_f64 v[114:115], v[132:133], v[114:115]
	v_fma_f64 v[120:121], v[0:1], s[28:29], -v[120:121]
	v_mul_f64 v[152:153], v[102:103], s[46:47]
	v_mul_f64 v[78:79], v[78:79], s[36:37]
	v_add_f64 v[132:133], v[136:137], v[134:135]
	v_fma_f64 v[134:135], v[76:77], s[22:23], v[144:145]
	v_add_f64 v[124:125], v[126:127], v[124:125]
	v_fma_f64 v[126:127], v[90:91], s[4:5], v[142:143]
	v_add_f64 v[114:115], v[128:129], v[114:115]
	v_add_f64 v[118:119], v[138:139], v[118:119]
	v_mul_f64 v[136:137], v[86:87], s[24:25]
	v_fma_f64 v[138:139], v[4:5], s[4:5], -v[140:141]
	v_add_f64 v[120:121], v[6:7], v[120:121]
	v_add_f64 v[128:129], v[134:135], v[132:133]
	;; [unrolled: 1-line block ×4, first 2 shown]
	v_fma_f64 v[126:127], v[100:101], s[18:19], v[130:131]
	v_mul_f64 v[140:141], v[98:99], s[48:49]
	v_fma_f64 v[134:135], v[80:81], s[6:7], v[136:137]
	v_fma_f64 v[136:137], v[80:81], s[6:7], -v[136:137]
	v_add_f64 v[120:121], v[138:139], v[120:121]
	v_fma_f64 v[138:139], v[76:77], s[22:23], -v[144:145]
	v_add_f64 v[132:133], v[58:59], v[132:133]
	v_fma_f64 v[142:143], v[90:91], s[4:5], -v[142:143]
	v_add_f64 v[124:125], v[126:127], v[124:125]
	v_mul_f64 v[126:127], v[74:75], s[36:37]
	v_add_f64 v[128:129], v[134:135], v[128:129]
	v_fma_f64 v[134:135], v[84:85], s[18:19], v[140:141]
	v_mul_f64 v[74:75], v[74:75], s[26:27]
	v_add_f64 v[120:121], v[138:139], v[120:121]
	v_add_f64 v[132:133], v[46:47], v[132:133]
	;; [unrolled: 1-line block ×3, first 2 shown]
	v_fma_f64 v[142:143], v[88:89], s[10:11], -v[148:149]
	v_fma_f64 v[144:145], v[0:1], s[18:19], v[126:127]
	v_fma_f64 v[126:127], v[0:1], s[18:19], -v[126:127]
	v_add_f64 v[128:129], v[134:135], v[128:129]
	v_fma_f64 v[134:135], v[88:89], s[10:11], v[148:149]
	v_add_f64 v[120:121], v[136:137], v[120:121]
	v_add_f64 v[132:133], v[70:71], v[132:133]
	v_fma_f64 v[136:137], v[84:85], s[18:19], -v[140:141]
	v_fma_f64 v[140:141], v[76:77], s[4:5], v[150:151]
	v_add_f64 v[138:139], v[6:7], v[144:145]
	v_fma_f64 v[144:145], v[4:5], s[16:17], v[146:147]
	v_fma_f64 v[146:147], v[4:5], s[16:17], -v[146:147]
	v_add_f64 v[128:129], v[134:135], v[128:129]
	v_fma_f64 v[134:135], v[90:91], s[16:17], v[152:153]
	v_add_f64 v[132:133], v[66:67], v[132:133]
	v_add_f64 v[120:121], v[136:137], v[120:121]
	;; [unrolled: 1-line block ×3, first 2 shown]
	v_mul_f64 v[82:83], v[82:83], s[54:55]
	v_add_f64 v[138:139], v[144:145], v[138:139]
	v_mul_f64 v[144:145], v[86:87], s[38:39]
	v_add_f64 v[128:129], v[134:135], v[128:129]
	v_add_f64 v[132:133], v[62:63], v[132:133]
	;; [unrolled: 1-line block ×3, first 2 shown]
	v_fma_f64 v[142:143], v[0:1], s[10:11], -v[74:75]
	v_fma_f64 v[0:1], v[0:1], s[10:11], v[74:75]
	v_add_f64 v[136:137], v[140:141], v[138:139]
	v_fma_f64 v[138:139], v[80:81], s[22:23], v[144:145]
	v_mul_f64 v[140:141], v[98:99], s[52:53]
	v_add_f64 v[126:127], v[146:147], v[126:127]
	v_add_f64 v[132:133], v[50:51], v[132:133]
	v_fma_f64 v[146:147], v[76:77], s[4:5], -v[150:151]
	v_add_f64 v[142:143], v[6:7], v[142:143]
	v_add_f64 v[0:1], v[6:7], v[0:1]
	v_fma_f64 v[144:145], v[80:81], s[22:23], -v[144:145]
	v_add_f64 v[134:135], v[138:139], v[136:137]
	v_fma_f64 v[136:137], v[84:85], s[14:15], v[140:141]
	v_fma_f64 v[6:7], v[76:77], s[28:29], -v[82:83]
	v_add_f64 v[132:133], v[42:43], v[132:133]
	v_add_f64 v[126:127], v[146:147], v[126:127]
	v_mul_f64 v[74:75], v[92:93], s[24:25]
	v_fma_f64 v[140:141], v[84:85], s[14:15], -v[140:141]
	v_fma_f64 v[138:139], v[90:91], s[16:17], -v[152:153]
	v_add_f64 v[134:135], v[136:137], v[134:135]
	v_fma_f64 v[136:137], v[4:5], s[18:19], -v[78:79]
	v_fma_f64 v[4:5], v[4:5], s[18:19], v[78:79]
	v_mul_f64 v[78:79], v[86:87], s[46:47]
	v_add_f64 v[86:87], v[38:39], v[132:133]
	v_add_f64 v[126:127], v[144:145], v[126:127]
	;; [unrolled: 1-line block ×4, first 2 shown]
	v_fma_f64 v[4:5], v[76:77], s[28:29], v[82:83]
	v_add_f64 v[82:83], v[34:35], v[86:87]
	v_fma_f64 v[76:77], v[80:81], s[16:17], -v[78:79]
	v_mul_f64 v[86:87], v[98:99], s[50:51]
	v_fma_f64 v[136:137], v[88:89], s[6:7], v[74:75]
	v_mul_f64 v[98:99], v[102:103], s[40:41]
	v_add_f64 v[6:7], v[6:7], v[132:133]
	v_add_f64 v[126:127], v[140:141], v[126:127]
	;; [unrolled: 1-line block ×3, first 2 shown]
	v_fma_f64 v[4:5], v[80:81], s[16:17], v[78:79]
	v_add_f64 v[78:79], v[30:31], v[82:83]
	v_fma_f64 v[74:75], v[88:89], s[6:7], -v[74:75]
	v_mul_f64 v[80:81], v[92:93], s[20:21]
	v_add_f64 v[82:83], v[136:137], v[134:135]
	v_add_f64 v[6:7], v[76:77], v[6:7]
	v_fma_f64 v[76:77], v[84:85], s[6:7], -v[86:87]
	v_fma_f64 v[92:93], v[90:91], s[28:29], v[98:99]
	v_add_f64 v[0:1], v[4:5], v[0:1]
	v_add_f64 v[4:5], v[26:27], v[78:79]
	;; [unrolled: 1-line block ×3, first 2 shown]
	v_fma_f64 v[78:79], v[84:85], s[6:7], v[86:87]
	v_mul_f64 v[84:85], v[102:103], s[30:31]
	v_fma_f64 v[86:87], v[90:91], s[28:29], -v[98:99]
	v_add_f64 v[6:7], v[76:77], v[6:7]
	v_fma_f64 v[76:77], v[88:89], s[4:5], -v[80:81]
	v_fma_f64 v[80:81], v[88:89], s[4:5], v[80:81]
	v_add_f64 v[4:5], v[22:23], v[4:5]
	v_mul_f64 v[88:89], v[104:105], s[44:45]
	v_add_f64 v[0:1], v[78:79], v[0:1]
	v_mul_f64 v[78:79], v[104:105], s[30:31]
	;; [unrolled: 2-line block ×3, first 2 shown]
	v_add_f64 v[6:7], v[76:77], v[6:7]
	v_fma_f64 v[76:77], v[90:91], s[14:15], -v[84:85]
	v_add_f64 v[4:5], v[18:19], v[4:5]
	v_fma_f64 v[84:85], v[90:91], s[14:15], v[84:85]
	v_add_f64 v[0:1], v[80:81], v[0:1]
	v_add_f64 v[98:99], v[138:139], v[120:121]
	;; [unrolled: 1-line block ×3, first 2 shown]
	v_fma_f64 v[90:91], v[100:101], s[22:23], -v[86:87]
	v_fma_f64 v[80:81], v[100:101], s[14:15], -v[78:79]
	v_add_f64 v[6:7], v[76:77], v[6:7]
	v_add_f64 v[4:5], v[14:15], v[4:5]
	v_fma_f64 v[92:93], v[100:101], s[10:11], -v[88:89]
	v_fma_f64 v[76:77], v[100:101], s[18:19], -v[130:131]
	v_fma_f64 v[78:79], v[100:101], s[14:15], v[78:79]
	v_fma_f64 v[88:89], v[100:101], s[10:11], v[88:89]
	;; [unrolled: 1-line block ×3, first 2 shown]
	v_add_f64 v[0:1], v[84:85], v[0:1]
	v_add_f64 v[6:7], v[90:91], v[6:7]
	v_add_f64 v[4:5], v[10:11], v[4:5]
	v_add_f64 v[80:81], v[80:81], v[98:99]
	v_add_f64 v[74:75], v[92:93], v[74:75]
	v_add_f64 v[76:77], v[76:77], v[114:115]
	v_mul_u32_u24_e32 v84, 0x88, v94
	v_add_f64 v[78:79], v[78:79], v[128:129]
	v_add_f64 v[82:83], v[88:89], v[82:83]
	v_add3_u32 v84, 0, v84, v95
	v_add_f64 v[0:1], v[86:87], v[0:1]
	ds_write2_b64 v84, v[4:5], v[6:7] offset1:1
	ds_write2_b64 v84, v[74:75], v[80:81] offset0:2 offset1:3
	ds_write2_b64 v84, v[76:77], v[118:119] offset0:4 offset1:5
	;; [unrolled: 1-line block ×7, first 2 shown]
	ds_write_b64 v84, v[0:1] offset:128
.LBB0_13:
	s_or_b64 exec, exec, s[42:43]
	v_add_f64 v[118:119], v[54:55], -v[10:11]
	v_add_f64 v[114:115], v[12:13], v[56:57]
	v_add_f64 v[110:111], v[58:59], -v[14:15]
	v_add_f64 v[108:109], v[16:17], v[60:61]
	;; [unrolled: 2-line block ×4, first 2 shown]
	v_mul_f64 v[116:117], v[118:119], s[20:21]
	v_add_f64 v[66:67], v[66:67], -v[26:27]
	v_mul_f64 v[112:113], v[110:111], s[24:25]
	v_add_f64 v[58:59], v[28:29], v[68:69]
	v_mul_f64 v[106:107], v[104:105], s[26:27]
	v_add_f64 v[54:55], v[62:63], -v[30:31]
	v_mul_f64 v[100:101], v[98:99], s[30:31]
	v_add_f64 v[46:47], v[32:33], v[64:65]
	v_fma_f64 v[0:1], v[114:115], s[4:5], -v[116:117]
	v_mul_f64 v[62:63], v[66:67], s[34:35]
	v_fma_f64 v[4:5], v[108:109], s[6:7], -v[112:113]
	v_add_f64 v[26:27], v[50:51], -v[34:35]
	v_fma_f64 v[6:7], v[102:103], s[10:11], -v[106:107]
	v_mul_f64 v[50:51], v[54:55], s[36:37]
	v_add_f64 v[22:23], v[36:37], v[52:53]
	v_add_f64 v[14:15], v[42:43], -v[38:39]
	v_add_f64 v[0:1], v[8:9], v[0:1]
	s_waitcnt lgkmcnt(0)
	s_barrier
	v_mul_f64 v[30:31], v[26:27], s[38:39]
	v_fma_f64 v[18:19], v[46:47], s[18:19], -v[50:51]
	v_mul_f64 v[10:11], v[14:15], s[40:41]
	v_add_f64 v[0:1], v[4:5], v[0:1]
	v_fma_f64 v[4:5], v[70:71], s[14:15], -v[100:101]
	v_add_f64 v[0:1], v[6:7], v[0:1]
	v_fma_f64 v[6:7], v[58:59], s[16:17], -v[62:63]
	v_add_f64 v[0:1], v[4:5], v[0:1]
	v_add_f64 v[4:5], v[40:41], v[44:45]
	;; [unrolled: 1-line block ×3, first 2 shown]
	v_fma_f64 v[6:7], v[22:23], s[22:23], -v[30:31]
	v_add_f64 v[0:1], v[18:19], v[0:1]
	v_lshlrev_b32_e32 v18, 3, v94
	v_add3_u32 v121, 0, v95, v18
	v_add_u32_e32 v124, 0, v18
	v_fma_f64 v[18:19], v[4:5], s[28:29], -v[10:11]
	v_add_u32_e32 v120, v124, v95
	v_add_u32_e32 v42, 0x800, v120
	;; [unrolled: 1-line block ×3, first 2 shown]
	v_add_f64 v[6:7], v[6:7], v[0:1]
	v_add_u32_e32 v123, 0x1800, v120
	ds_read_b64 v[0:1], v121
	ds_read2_b64 v[86:89], v120 offset0:102 offset1:204
	v_add_u32_e32 v43, 0xc00, v120
	ds_read2_b64 v[90:93], v42 offset0:50 offset1:152
	ds_read2_b64 v[78:81], v43 offset0:126 offset1:228
	;; [unrolled: 1-line block ×4, first 2 shown]
	v_add_f64 v[6:7], v[18:19], v[6:7]
	s_waitcnt lgkmcnt(0)
	s_barrier
	s_and_saveexec_b64 s[20:21], s[2:3]
	s_cbranch_execz .LBB0_15
; %bb.14:
	v_add_f64 v[18:19], v[56:57], v[8:9]
	v_mul_f64 v[38:39], v[46:47], s[18:19]
	s_mov_b32 s18, 0x5d8e7cdc
	s_mov_b32 s19, 0xbfd71e95
	v_mul_f64 v[56:57], v[114:115], s[4:5]
	s_mov_b32 s42, 0x7c9e640b
	v_mul_f64 v[125:126], v[108:109], s[6:7]
	v_mul_f64 v[129:130], v[70:71], s[14:15]
	v_add_f64 v[60:61], v[60:61], v[18:19]
	v_mul_f64 v[131:132], v[58:59], s[16:17]
	s_mov_b32 s6, 0x370991
	s_mov_b32 s15, 0xbfe58eea
	;; [unrolled: 1-line block ×6, first 2 shown]
	v_add_f64 v[48:49], v[48:49], v[60:61]
	s_mov_b32 s26, 0x4363dd80
	s_mov_b32 s36, 0xacd6c6b4
	;; [unrolled: 1-line block ×7, first 2 shown]
	v_add_f64 v[48:49], v[72:73], v[48:49]
	v_mul_f64 v[60:61], v[118:119], s[14:15]
	v_mul_f64 v[72:73], v[118:119], s[16:17]
	;; [unrolled: 1-line block ×3, first 2 shown]
	v_add_f64 v[56:57], v[56:57], v[116:117]
	v_mul_f64 v[18:19], v[4:5], s[28:29]
	s_mov_b32 s2, 0x75d4884
	s_mov_b32 s30, 0x2b2883cd
	v_add_f64 v[48:49], v[68:69], v[48:49]
	v_mul_f64 v[68:69], v[118:119], s[38:39]
	s_mov_b32 s28, 0x6c9a05f6
	v_mul_f64 v[127:128], v[102:103], s[10:11]
	v_mul_f64 v[34:35], v[22:23], s[22:23]
	s_mov_b32 s3, 0x3fe7a5f6
	s_mov_b32 s31, 0x3fdc86fa
	;; [unrolled: 1-line block ×3, first 2 shown]
	v_add_f64 v[48:49], v[64:65], v[48:49]
	v_mul_f64 v[64:65], v[118:119], s[42:43]
	s_mov_b32 s10, 0xc61f0d01
	s_mov_b32 s22, 0x910ea3b9
	;; [unrolled: 1-line block ×6, first 2 shown]
	v_add_f64 v[48:49], v[52:53], v[48:49]
	v_mul_f64 v[52:53], v[118:119], s[18:19]
	s_mov_b32 s23, 0xbfeb34fa
	s_mov_b32 s35, 0xbfef7484
	;; [unrolled: 1-line block ×3, first 2 shown]
	v_mul_f64 v[135:136], v[110:111], s[38:39]
	v_mul_f64 v[137:138], v[110:111], s[28:29]
	s_mov_b32 s46, s26
	v_add_f64 v[44:45], v[44:45], v[48:49]
	v_mul_f64 v[48:49], v[118:119], s[36:37]
	v_mul_f64 v[118:119], v[110:111], s[14:15]
	v_fma_f64 v[116:117], v[114:115], s[6:7], v[52:53]
	v_fma_f64 v[52:53], v[114:115], s[6:7], -v[52:53]
	v_fma_f64 v[143:144], v[114:115], s[2:3], v[60:61]
	v_fma_f64 v[145:146], v[114:115], s[4:5], v[68:69]
	v_fma_f64 v[68:69], v[114:115], s[4:5], -v[68:69]
	v_add_f64 v[40:41], v[40:41], v[44:45]
	v_mul_f64 v[44:45], v[110:111], s[46:47]
	v_fma_f64 v[147:148], v[114:115], s[10:11], v[72:73]
	v_fma_f64 v[72:73], v[114:115], s[10:11], -v[72:73]
	v_fma_f64 v[149:150], v[114:115], s[34:35], v[48:49]
	v_fma_f64 v[48:49], v[114:115], s[34:35], -v[48:49]
	s_mov_b32 s24, 0x6ed5f1bb
	s_mov_b32 s25, 0xbfe348c8
	v_add_f64 v[36:37], v[36:37], v[40:41]
	v_fma_f64 v[40:41], v[114:115], s[2:3], -v[60:61]
	v_fma_f64 v[60:61], v[114:115], s[30:31], v[64:65]
	v_fma_f64 v[64:65], v[114:115], s[30:31], -v[64:65]
	s_mov_b32 s45, 0x3feca52d
	s_mov_b32 s44, s42
	;; [unrolled: 1-line block ×4, first 2 shown]
	v_add_f64 v[32:33], v[32:33], v[36:37]
	v_fma_f64 v[36:37], v[114:115], s[22:23], v[133:134]
	v_fma_f64 v[133:134], v[114:115], s[22:23], -v[133:134]
	v_fma_f64 v[114:115], v[108:109], s[2:3], v[118:119]
	v_mul_f64 v[141:142], v[110:111], s[44:45]
	v_fma_f64 v[118:119], v[108:109], s[2:3], -v[118:119]
	v_fma_f64 v[151:152], v[108:109], s[4:5], v[135:136]
	v_add_f64 v[52:53], v[8:9], v[52:53]
	v_add_f64 v[28:29], v[28:29], v[32:33]
	v_fma_f64 v[32:33], v[108:109], s[4:5], -v[135:136]
	v_fma_f64 v[135:136], v[108:109], s[24:25], v[137:138]
	v_fma_f64 v[137:138], v[108:109], s[24:25], -v[137:138]
	v_add_f64 v[64:65], v[8:9], v[64:65]
	v_mul_f64 v[139:140], v[110:111], s[36:37]
	v_fma_f64 v[155:156], v[108:109], s[22:23], v[44:45]
	v_add_f64 v[72:73], v[8:9], v[72:73]
	v_add_f64 v[24:25], v[24:25], v[28:29]
	;; [unrolled: 1-line block ×4, first 2 shown]
	v_fma_f64 v[44:45], v[108:109], s[22:23], -v[44:45]
	v_add_f64 v[56:57], v[8:9], v[56:57]
	v_add_f64 v[133:134], v[8:9], v[133:134]
	v_fma_f64 v[153:154], v[108:109], s[34:35], v[139:140]
	v_fma_f64 v[139:140], v[108:109], s[34:35], -v[139:140]
	v_add_f64 v[20:21], v[20:21], v[24:25]
	v_add_f64 v[40:41], v[8:9], v[40:41]
	;; [unrolled: 1-line block ×10, first 2 shown]
	v_mul_f64 v[114:115], v[104:105], s[42:43]
	v_add_f64 v[28:29], v[118:119], v[52:53]
	v_add_f64 v[52:53], v[137:138], v[64:65]
	;; [unrolled: 1-line block ×3, first 2 shown]
	v_fma_f64 v[112:113], v[108:109], s[30:31], -v[141:142]
	v_add_f64 v[8:9], v[8:9], v[48:49]
	v_add_f64 v[12:13], v[12:13], v[16:17]
	v_mul_f64 v[16:17], v[110:111], s[40:41]
	v_add_f64 v[48:49], v[151:152], v[116:117]
	v_fma_f64 v[110:111], v[108:109], s[30:31], v[141:142]
	v_add_f64 v[44:45], v[44:45], v[72:73]
	v_fma_f64 v[72:73], v[102:103], s[30:31], v[114:115]
	s_mov_b32 s49, 0x3fc7851a
	s_mov_b32 s48, s36
	v_add_f64 v[56:57], v[64:65], v[56:57]
	v_fma_f64 v[116:117], v[108:109], s[6:7], v[16:17]
	v_fma_f64 v[16:17], v[108:109], s[6:7], -v[16:17]
	v_mul_f64 v[108:109], v[104:105], s[28:29]
	v_add_f64 v[64:65], v[112:113], v[133:134]
	v_mul_f64 v[112:113], v[104:105], s[48:49]
	s_mov_b32 s49, 0x3feec746
	s_mov_b32 s48, s16
	v_add_f64 v[20:21], v[72:73], v[20:21]
	s_mov_b32 s15, 0x3fe58eea
	v_add_f64 v[8:9], v[16:17], v[8:9]
	v_fma_f64 v[16:17], v[102:103], s[30:31], -v[114:115]
	v_fma_f64 v[72:73], v[102:103], s[24:25], v[108:109]
	v_mul_f64 v[114:115], v[104:105], s[48:49]
	v_add_f64 v[32:33], v[32:33], v[40:41]
	v_add_f64 v[40:41], v[135:136], v[60:61]
	;; [unrolled: 1-line block ×5, first 2 shown]
	v_fma_f64 v[108:109], v[102:103], s[24:25], -v[108:109]
	v_add_f64 v[16:17], v[16:17], v[28:29]
	v_fma_f64 v[28:29], v[102:103], s[34:35], v[112:113]
	v_mul_f64 v[116:117], v[104:105], s[14:15]
	v_add_f64 v[48:49], v[72:73], v[48:49]
	v_fma_f64 v[72:73], v[102:103], s[10:11], v[114:115]
	v_add_f64 v[68:69], v[155:156], v[68:69]
	v_fma_f64 v[112:113], v[102:103], s[34:35], -v[112:113]
	v_add_f64 v[32:33], v[108:109], v[32:33]
	v_fma_f64 v[108:109], v[102:103], s[10:11], -v[114:115]
	v_mul_f64 v[114:115], v[104:105], s[38:39]
	v_add_f64 v[28:29], v[28:29], v[40:41]
	v_fma_f64 v[40:41], v[102:103], s[2:3], v[116:117]
	v_add_f64 v[60:61], v[72:73], v[60:61]
	v_add_f64 v[72:73], v[127:128], v[106:107]
	;; [unrolled: 1-line block ×4, first 2 shown]
	v_fma_f64 v[112:113], v[102:103], s[2:3], -v[116:117]
	v_fma_f64 v[106:107], v[102:103], s[4:5], v[114:115]
	v_mul_f64 v[104:105], v[104:105], s[26:27]
	v_add_f64 v[40:41], v[40:41], v[68:69]
	v_fma_f64 v[68:69], v[102:103], s[4:5], -v[114:115]
	v_add_f64 v[56:57], v[72:73], v[56:57]
	v_mul_f64 v[72:73], v[98:99], s[36:37]
	v_add_f64 v[24:25], v[108:109], v[24:25]
	v_add_f64 v[44:45], v[112:113], v[44:45]
	v_mul_f64 v[108:109], v[98:99], s[38:39]
	v_add_f64 v[36:37], v[106:107], v[36:37]
	v_fma_f64 v[106:107], v[102:103], s[22:23], v[104:105]
	v_fma_f64 v[102:103], v[102:103], s[22:23], -v[104:105]
	v_add_f64 v[64:65], v[68:69], v[64:65]
	v_mul_f64 v[68:69], v[98:99], s[48:49]
	v_fma_f64 v[112:113], v[70:71], s[34:35], v[72:73]
	v_fma_f64 v[72:73], v[70:71], s[34:35], -v[72:73]
	v_fma_f64 v[104:105], v[70:71], s[4:5], v[108:109]
	v_fma_f64 v[108:109], v[70:71], s[4:5], -v[108:109]
	v_add_f64 v[106:107], v[106:107], v[110:111]
	v_add_f64 v[8:9], v[102:103], v[8:9]
	v_mul_f64 v[102:103], v[98:99], s[40:41]
	v_fma_f64 v[110:111], v[70:71], s[10:11], v[68:69]
	v_fma_f64 v[68:69], v[70:71], s[10:11], -v[68:69]
	v_add_f64 v[32:33], v[72:73], v[32:33]
	v_mul_f64 v[72:73], v[98:99], s[42:43]
	s_mov_b32 s51, 0x3fe9895b
	s_mov_b32 s50, s28
	v_add_f64 v[20:21], v[104:105], v[20:21]
	v_add_f64 v[16:17], v[108:109], v[16:17]
	v_fma_f64 v[104:105], v[70:71], s[6:7], v[102:103]
	v_add_f64 v[28:29], v[110:111], v[28:29]
	v_fma_f64 v[102:103], v[70:71], s[6:7], -v[102:103]
	v_mul_f64 v[108:109], v[98:99], s[50:51]
	v_fma_f64 v[110:111], v[70:71], s[30:31], v[72:73]
	v_add_f64 v[52:53], v[68:69], v[52:53]
	v_fma_f64 v[68:69], v[70:71], s[30:31], -v[72:73]
	v_mul_f64 v[72:73], v[98:99], s[14:15]
	v_add_f64 v[60:61], v[104:105], v[60:61]
	v_add_f64 v[98:99], v[129:130], v[100:101]
	;; [unrolled: 1-line block ×3, first 2 shown]
	v_fma_f64 v[100:101], v[70:71], s[24:25], v[108:109]
	v_fma_f64 v[102:103], v[70:71], s[24:25], -v[108:109]
	v_mul_f64 v[104:105], v[66:67], s[16:17]
	v_add_f64 v[44:45], v[68:69], v[44:45]
	v_fma_f64 v[68:69], v[70:71], s[2:3], v[72:73]
	v_fma_f64 v[70:71], v[70:71], s[2:3], -v[72:73]
	v_add_f64 v[56:57], v[98:99], v[56:57]
	v_mul_f64 v[72:73], v[66:67], s[46:47]
	v_add_f64 v[36:37], v[100:101], v[36:37]
	v_add_f64 v[64:65], v[102:103], v[64:65]
	v_fma_f64 v[98:99], v[58:59], s[10:11], v[104:105]
	v_mul_f64 v[100:101], v[66:67], s[14:15]
	v_mul_f64 v[102:103], v[66:67], s[42:43]
	v_add_f64 v[8:9], v[70:71], v[8:9]
	v_fma_f64 v[70:71], v[58:59], s[10:11], -v[104:105]
	v_add_f64 v[68:69], v[68:69], v[106:107]
	v_fma_f64 v[104:105], v[58:59], s[22:23], v[72:73]
	v_fma_f64 v[72:73], v[58:59], s[22:23], -v[72:73]
	v_add_f64 v[20:21], v[98:99], v[20:21]
	v_fma_f64 v[98:99], v[58:59], s[2:3], v[100:101]
	v_fma_f64 v[100:101], v[58:59], s[2:3], -v[100:101]
	v_mul_f64 v[106:107], v[66:67], s[36:37]
	v_add_f64 v[16:17], v[70:71], v[16:17]
	v_fma_f64 v[70:71], v[58:59], s[30:31], v[102:103]
	v_add_f64 v[40:41], v[110:111], v[40:41]
	v_add_f64 v[32:33], v[72:73], v[32:33]
	v_fma_f64 v[72:73], v[58:59], s[30:31], -v[102:103]
	v_add_f64 v[28:29], v[98:99], v[28:29]
	v_add_f64 v[52:53], v[100:101], v[52:53]
	v_fma_f64 v[98:99], v[58:59], s[34:35], v[106:107]
	v_mul_f64 v[100:101], v[66:67], s[18:19]
	v_add_f64 v[60:61], v[70:71], v[60:61]
	v_fma_f64 v[70:71], v[58:59], s[34:35], -v[106:107]
	v_mul_f64 v[66:67], v[66:67], s[28:29]
	v_add_f64 v[24:25], v[72:73], v[24:25]
	v_mul_f64 v[72:73], v[54:55], s[28:29]
	v_add_f64 v[62:63], v[131:132], v[62:63]
	v_add_f64 v[40:41], v[98:99], v[40:41]
	v_fma_f64 v[98:99], v[58:59], s[6:7], v[100:101]
	v_fma_f64 v[100:101], v[58:59], s[6:7], -v[100:101]
	v_add_f64 v[44:45], v[70:71], v[44:45]
	v_fma_f64 v[70:71], v[58:59], s[24:25], v[66:67]
	v_fma_f64 v[58:59], v[58:59], s[24:25], -v[66:67]
	v_fma_f64 v[66:67], v[46:47], s[24:25], v[72:73]
	v_add_f64 v[56:57], v[62:63], v[56:57]
	v_mul_f64 v[62:63], v[54:55], s[48:49]
	v_add_f64 v[36:37], v[98:99], v[36:37]
	v_mul_f64 v[98:99], v[54:55], s[18:19]
	s_mov_b32 s43, 0x3fefdd0d
	s_mov_b32 s42, s38
	v_add_f64 v[8:9], v[58:59], v[8:9]
	v_fma_f64 v[58:59], v[46:47], s[24:25], -v[72:73]
	v_add_f64 v[64:65], v[100:101], v[64:65]
	v_add_f64 v[68:69], v[70:71], v[68:69]
	;; [unrolled: 1-line block ×3, first 2 shown]
	v_fma_f64 v[66:67], v[46:47], s[10:11], v[62:63]
	v_fma_f64 v[62:63], v[46:47], s[10:11], -v[62:63]
	v_mul_f64 v[70:71], v[54:55], s[26:27]
	v_fma_f64 v[72:73], v[46:47], s[6:7], v[98:99]
	v_mul_f64 v[100:101], v[54:55], s[42:43]
	v_add_f64 v[16:17], v[58:59], v[16:17]
	v_fma_f64 v[58:59], v[46:47], s[6:7], -v[98:99]
	v_add_f64 v[48:49], v[112:113], v[48:49]
	v_add_f64 v[38:39], v[38:39], v[50:51]
	;; [unrolled: 1-line block ×3, first 2 shown]
	v_fma_f64 v[62:63], v[46:47], s[22:23], -v[70:71]
	v_add_f64 v[28:29], v[72:73], v[28:29]
	v_mul_f64 v[72:73], v[54:55], s[36:37]
	v_mul_f64 v[50:51], v[54:55], s[44:45]
	v_add_f64 v[52:53], v[58:59], v[52:53]
	v_fma_f64 v[58:59], v[46:47], s[4:5], -v[100:101]
	v_add_f64 v[48:49], v[104:105], v[48:49]
	v_add_f64 v[38:39], v[38:39], v[56:57]
	;; [unrolled: 1-line block ×4, first 2 shown]
	v_fma_f64 v[54:55], v[46:47], s[34:35], v[72:73]
	v_fma_f64 v[62:63], v[46:47], s[34:35], -v[72:73]
	v_fma_f64 v[56:57], v[46:47], s[30:31], v[50:51]
	v_add_f64 v[44:45], v[58:59], v[44:45]
	v_mul_f64 v[58:59], v[26:27], s[26:27]
	v_add_f64 v[48:49], v[66:67], v[48:49]
	v_fma_f64 v[66:67], v[46:47], s[22:23], v[70:71]
	v_fma_f64 v[70:71], v[46:47], s[4:5], v[100:101]
	v_fma_f64 v[46:47], v[46:47], s[30:31], -v[50:51]
	v_mul_f64 v[50:51], v[26:27], s[44:45]
	v_add_f64 v[36:37], v[54:55], v[36:37]
	v_add_f64 v[54:55], v[62:63], v[64:65]
	v_fma_f64 v[64:65], v[22:23], s[22:23], v[58:59]
	v_fma_f64 v[58:59], v[22:23], s[22:23], -v[58:59]
	v_add_f64 v[60:61], v[66:67], v[60:61]
	v_mul_f64 v[66:67], v[26:27], s[50:51]
	v_add_f64 v[8:9], v[46:47], v[8:9]
	v_fma_f64 v[46:47], v[22:23], s[30:31], v[50:51]
	v_fma_f64 v[50:51], v[22:23], s[30:31], -v[50:51]
	v_mul_f64 v[62:63], v[26:27], s[38:39]
	v_add_f64 v[20:21], v[64:65], v[20:21]
	v_add_f64 v[16:17], v[58:59], v[16:17]
	v_mul_f64 v[58:59], v[26:27], s[18:19]
	v_fma_f64 v[64:65], v[22:23], s[24:25], -v[66:67]
	v_add_f64 v[56:57], v[56:57], v[68:69]
	v_add_f64 v[46:47], v[46:47], v[48:49]
	;; [unrolled: 1-line block ×3, first 2 shown]
	v_mul_f64 v[50:51], v[26:27], s[14:15]
	v_fma_f64 v[48:49], v[22:23], s[24:25], v[66:67]
	v_mul_f64 v[26:27], v[26:27], s[16:17]
	v_fma_f64 v[66:67], v[22:23], s[6:7], v[58:59]
	v_fma_f64 v[58:59], v[22:23], s[6:7], -v[58:59]
	v_fma_f64 v[68:69], v[22:23], s[4:5], v[62:63]
	v_fma_f64 v[62:63], v[22:23], s[4:5], -v[62:63]
	v_add_f64 v[30:31], v[30:31], v[38:39]
	v_fma_f64 v[34:35], v[22:23], s[2:3], v[50:51]
	v_fma_f64 v[50:51], v[22:23], s[2:3], -v[50:51]
	v_fma_f64 v[38:39], v[22:23], s[10:11], v[26:27]
	v_fma_f64 v[22:23], v[22:23], s[10:11], -v[26:27]
	v_add_f64 v[44:45], v[58:59], v[44:45]
	v_mul_f64 v[58:59], v[14:15], s[36:37]
	v_add_f64 v[40:41], v[70:71], v[40:41]
	v_add_f64 v[28:29], v[68:69], v[28:29]
	;; [unrolled: 1-line block ×3, first 2 shown]
	v_mul_f64 v[36:37], v[14:15], s[40:41]
	v_add_f64 v[26:27], v[50:51], v[54:55]
	v_mul_f64 v[50:51], v[14:15], s[26:27]
	v_add_f64 v[8:9], v[22:23], v[8:9]
	v_fma_f64 v[54:55], v[4:5], s[34:35], v[58:59]
	v_fma_f64 v[58:59], v[4:5], s[34:35], -v[58:59]
	v_add_f64 v[38:39], v[38:39], v[56:57]
	v_mul_f64 v[56:57], v[14:15], s[14:15]
	v_fma_f64 v[22:23], v[4:5], s[6:7], -v[36:37]
	v_add_f64 v[52:53], v[62:63], v[52:53]
	v_add_f64 v[48:49], v[48:49], v[60:61]
	v_fma_f64 v[60:61], v[4:5], s[6:7], v[36:37]
	v_fma_f64 v[36:37], v[4:5], s[22:23], v[50:51]
	v_add_f64 v[16:17], v[58:59], v[16:17]
	v_fma_f64 v[50:51], v[4:5], s[22:23], -v[50:51]
	v_mul_f64 v[58:59], v[14:15], s[28:29]
	v_add_f64 v[22:23], v[22:23], v[32:33]
	v_mul_f64 v[32:33], v[14:15], s[16:17]
	v_mul_f64 v[14:15], v[14:15], s[42:43]
	v_add_f64 v[20:21], v[54:55], v[20:21]
	v_fma_f64 v[54:55], v[4:5], s[2:3], v[56:57]
	v_add_f64 v[40:41], v[66:67], v[40:41]
	v_add_f64 v[28:29], v[36:37], v[28:29]
	;; [unrolled: 1-line block ×3, first 2 shown]
	v_fma_f64 v[52:53], v[4:5], s[24:25], v[58:59]
	v_add_f64 v[10:11], v[18:19], v[10:11]
	v_fma_f64 v[18:19], v[4:5], s[10:11], v[32:33]
	v_fma_f64 v[50:51], v[4:5], s[2:3], -v[56:57]
	v_fma_f64 v[56:57], v[4:5], s[4:5], v[14:15]
	v_fma_f64 v[14:15], v[4:5], s[4:5], -v[14:15]
	v_add_f64 v[48:49], v[54:55], v[48:49]
	v_fma_f64 v[54:55], v[4:5], s[24:25], -v[58:59]
	v_fma_f64 v[4:5], v[4:5], s[10:11], -v[32:33]
	v_add_f64 v[24:25], v[64:65], v[24:25]
	v_add_f64 v[46:47], v[60:61], v[46:47]
	;; [unrolled: 1-line block ×10, first 2 shown]
	v_lshlrev_b32_e32 v14, 7, v94
	v_add3_u32 v14, v124, v14, v95
	ds_write2_b64 v14, v[12:13], v[20:21] offset1:1
	ds_write2_b64 v14, v[46:47], v[28:29] offset0:2 offset1:3
	ds_write2_b64 v14, v[48:49], v[32:33] offset0:4 offset1:5
	;; [unrolled: 1-line block ×7, first 2 shown]
	ds_write_b64 v14, v[16:17] offset:128
.LBB0_15:
	s_or_b64 exec, exec, s[20:21]
	s_movk_i32 s2, 0xf1
	v_mul_lo_u16_sdwa v4, v94, s2 dst_sel:DWORD dst_unused:UNUSED_PAD src0_sel:BYTE_0 src1_sel:DWORD
	v_lshrrev_b16_e32 v16, 12, v4
	v_mul_lo_u16_e32 v4, 17, v16
	v_sub_u16_e32 v17, v94, v4
	v_mov_b32_e32 v4, 10
	v_mul_u32_u24_sdwa v4, v17, v4 dst_sel:DWORD dst_unused:UNUSED_PAD src0_sel:BYTE_0 src1_sel:DWORD
	v_lshlrev_b32_e32 v4, 4, v4
	s_waitcnt lgkmcnt(0)
	s_barrier
	global_load_dwordx4 v[8:11], v4, s[8:9]
	global_load_dwordx4 v[12:15], v4, s[8:9] offset:16
	global_load_dwordx4 v[18:21], v4, s[8:9] offset:32
	;; [unrolled: 1-line block ×9, first 2 shown]
	ds_read_b64 v[4:5], v121
	ds_read2_b64 v[30:33], v120 offset0:102 offset1:204
	ds_read2_b64 v[44:47], v42 offset0:50 offset1:152
	;; [unrolled: 1-line block ×5, first 2 shown]
	s_mov_b32 s20, 0xf8bb580b
	s_mov_b32 s34, 0x8eee2c13
	;; [unrolled: 1-line block ×28, first 2 shown]
	s_movk_i32 s2, 0x5d8
	v_mad_u32_u24 v16, v16, s2, 0
	s_waitcnt vmcnt(0) lgkmcnt(0)
	s_barrier
	s_movk_i32 s2, 0x55
	v_cmp_gt_u32_e64 s[2:3], s2, v94
	v_mul_f64 v[34:35], v[30:31], v[10:11]
	v_mul_f64 v[10:11], v[86:87], v[10:11]
	;; [unrolled: 1-line block ×11, first 2 shown]
	v_fma_f64 v[62:63], v[86:87], v[8:9], -v[34:35]
	v_mul_f64 v[118:119], v[82:83], v[58:59]
	v_fma_f64 v[64:65], v[30:31], v[8:9], v[10:11]
	v_fma_f64 v[58:59], v[88:89], v[12:13], -v[52:53]
	v_fma_f64 v[54:55], v[90:91], v[18:19], -v[54:55]
	;; [unrolled: 1-line block ×3, first 2 shown]
	v_mul_f64 v[24:25], v[92:93], v[24:25]
	v_mul_f64 v[112:113], v[100:101], v[50:51]
	v_add_f64 v[8:9], v[0:1], v[62:63]
	v_mul_f64 v[114:115], v[76:77], v[50:51]
	v_fma_f64 v[50:51], v[44:45], v[18:19], v[20:21]
	v_fma_f64 v[44:45], v[104:105], v[60:61], v[124:125]
	v_mul_f64 v[106:107], v[78:79], v[28:29]
	v_mul_f64 v[108:109], v[42:43], v[38:39]
	v_fma_f64 v[28:29], v[78:79], v[26:27], -v[72:73]
	v_mul_f64 v[38:39], v[80:81], v[38:39]
	v_add_f64 v[8:9], v[8:9], v[58:59]
	v_mul_f64 v[110:111], v[98:99], v[70:71]
	v_mul_f64 v[70:71], v[74:75], v[70:71]
	v_fma_f64 v[52:53], v[32:33], v[12:13], v[14:15]
	v_fma_f64 v[32:33], v[46:47], v[22:23], v[24:25]
	v_fma_f64 v[66:67], v[84:85], v[60:61], -v[122:123]
	v_fma_f64 v[46:47], v[102:103], v[56:57], v[118:119]
	v_add_f64 v[10:11], v[64:65], -v[44:45]
	v_add_f64 v[8:9], v[8:9], v[54:55]
	v_fma_f64 v[30:31], v[80:81], v[36:37], -v[108:109]
	v_fma_f64 v[22:23], v[42:43], v[36:37], v[38:39]
	v_fma_f64 v[36:37], v[74:75], v[68:69], -v[110:111]
	v_fma_f64 v[60:61], v[82:83], v[56:57], -v[116:117]
	;; [unrolled: 1-line block ×3, first 2 shown]
	v_fma_f64 v[48:49], v[100:101], v[48:49], v[114:115]
	v_fma_f64 v[38:39], v[98:99], v[68:69], v[70:71]
	v_add_f64 v[8:9], v[8:9], v[34:35]
	v_add_f64 v[12:13], v[62:63], v[66:67]
	v_add_f64 v[18:19], v[52:53], -v[46:47]
	v_mul_f64 v[42:43], v[10:11], s[20:21]
	v_mul_f64 v[68:69], v[10:11], s[34:35]
	v_fma_f64 v[20:21], v[40:41], v[26:27], v[106:107]
	v_add_f64 v[14:15], v[58:59], v[60:61]
	v_add_f64 v[26:27], v[50:51], -v[48:49]
	v_add_f64 v[8:9], v[8:9], v[28:29]
	v_mul_f64 v[70:71], v[10:11], s[14:15]
	v_mul_f64 v[72:73], v[10:11], s[18:19]
	;; [unrolled: 1-line block ×5, first 2 shown]
	v_fma_f64 v[90:91], v[12:13], s[4:5], -v[42:43]
	v_fma_f64 v[92:93], v[12:13], s[6:7], -v[68:69]
	v_add_f64 v[8:9], v[8:9], v[30:31]
	v_fma_f64 v[68:69], v[12:13], s[6:7], v[68:69]
	v_fma_f64 v[42:43], v[12:13], s[4:5], v[42:43]
	v_add_f64 v[24:25], v[54:55], v[56:57]
	v_mul_f64 v[78:79], v[18:19], s[36:37]
	v_mul_f64 v[80:81], v[18:19], s[30:31]
	;; [unrolled: 1-line block ×4, first 2 shown]
	v_add_f64 v[8:9], v[8:9], v[36:37]
	v_mul_f64 v[84:85], v[26:27], s[36:37]
	v_fma_f64 v[98:99], v[12:13], s[10:11], -v[70:71]
	v_fma_f64 v[70:71], v[12:13], s[10:11], v[70:71]
	v_fma_f64 v[100:101], v[12:13], s[16:17], -v[72:73]
	v_fma_f64 v[72:73], v[12:13], s[16:17], v[72:73]
	;; [unrolled: 2-line block ×3, first 2 shown]
	v_fma_f64 v[12:13], v[14:15], s[6:7], -v[74:75]
	v_fma_f64 v[104:105], v[14:15], s[16:17], -v[76:77]
	v_fma_f64 v[76:77], v[14:15], s[16:17], v[76:77]
	v_add_f64 v[90:91], v[0:1], v[90:91]
	v_add_f64 v[68:69], v[0:1], v[68:69]
	v_fma_f64 v[74:75], v[14:15], s[6:7], v[74:75]
	v_add_f64 v[42:43], v[0:1], v[42:43]
	v_add_f64 v[92:93], v[0:1], v[92:93]
	v_add_f64 v[8:9], v[8:9], v[56:57]
	v_add_f64 v[40:41], v[32:33], -v[38:39]
	v_fma_f64 v[106:107], v[14:15], s[22:23], -v[78:79]
	v_fma_f64 v[78:79], v[14:15], s[22:23], v[78:79]
	v_fma_f64 v[108:109], v[14:15], s[10:11], -v[80:81]
	v_fma_f64 v[80:81], v[14:15], s[10:11], v[80:81]
	;; [unrolled: 2-line block ×3, first 2 shown]
	v_fma_f64 v[18:19], v[24:25], s[10:11], -v[82:83]
	v_fma_f64 v[112:113], v[24:25], s[22:23], -v[84:85]
	v_fma_f64 v[84:85], v[24:25], s[22:23], v[84:85]
	v_add_f64 v[98:99], v[0:1], v[98:99]
	v_add_f64 v[70:71], v[0:1], v[70:71]
	;; [unrolled: 1-line block ×8, first 2 shown]
	v_mul_f64 v[86:87], v[26:27], s[28:29]
	v_mul_f64 v[88:89], v[26:27], s[20:21]
	v_fma_f64 v[82:83], v[24:25], s[10:11], v[82:83]
	v_add_f64 v[12:13], v[74:75], v[42:43]
	v_add_f64 v[42:43], v[104:105], v[92:93]
	;; [unrolled: 1-line block ×3, first 2 shown]
	v_mul_f64 v[26:27], v[26:27], s[18:19]
	v_add_f64 v[72:73], v[80:81], v[72:73]
	v_add_f64 v[10:11], v[18:19], v[10:11]
	;; [unrolled: 1-line block ×4, first 2 shown]
	v_mul_f64 v[80:81], v[40:41], s[18:19]
	v_add_f64 v[70:71], v[78:79], v[70:71]
	v_add_f64 v[76:77], v[108:109], v[100:101]
	;; [unrolled: 1-line block ×6, first 2 shown]
	v_fma_f64 v[8:9], v[24:25], s[6:7], v[86:87]
	v_fma_f64 v[82:83], v[24:25], s[4:5], -v[88:89]
	v_fma_f64 v[114:115], v[24:25], s[6:7], -v[86:87]
	v_fma_f64 v[84:85], v[24:25], s[4:5], v[88:89]
	v_fma_f64 v[88:89], v[24:25], s[16:17], -v[26:27]
	v_fma_f64 v[24:25], v[24:25], s[16:17], v[26:27]
	v_fma_f64 v[26:27], v[68:69], s[16:17], -v[80:81]
	v_mul_f64 v[86:87], v[40:41], s[30:31]
	v_add_f64 v[8:9], v[8:9], v[70:71]
	v_add_f64 v[70:71], v[82:83], v[76:77]
	v_fma_f64 v[76:77], v[68:69], s[16:17], v[80:81]
	v_add_f64 v[78:79], v[110:111], v[102:103]
	v_add_f64 v[74:75], v[106:107], v[98:99]
	;; [unrolled: 1-line block ×4, first 2 shown]
	v_mul_f64 v[24:25], v[40:41], s[24:25]
	v_add_f64 v[26:27], v[20:21], -v[22:23]
	v_fma_f64 v[80:81], v[68:69], s[10:11], -v[86:87]
	v_mul_f64 v[82:83], v[40:41], s[20:21]
	v_add_f64 v[12:13], v[76:77], v[12:13]
	v_fma_f64 v[76:77], v[68:69], s[10:11], v[86:87]
	v_mul_f64 v[40:41], v[40:41], s[28:29]
	v_add_f64 v[72:73], v[84:85], v[72:73]
	v_add_f64 v[78:79], v[88:89], v[78:79]
	v_fma_f64 v[84:85], v[68:69], s[22:23], -v[24:25]
	v_add_f64 v[86:87], v[28:29], v[30:31]
	v_mul_f64 v[88:89], v[26:27], s[24:25]
	v_add_f64 v[74:75], v[114:115], v[74:75]
	v_add_f64 v[14:15], v[80:81], v[14:15]
	v_fma_f64 v[80:81], v[68:69], s[4:5], -v[82:83]
	v_fma_f64 v[24:25], v[68:69], s[22:23], v[24:25]
	v_add_f64 v[18:19], v[76:77], v[18:19]
	v_fma_f64 v[76:77], v[68:69], s[6:7], -v[40:41]
	v_fma_f64 v[82:83], v[68:69], s[4:5], v[82:83]
	v_fma_f64 v[40:41], v[68:69], s[6:7], v[40:41]
	v_add_f64 v[68:69], v[84:85], v[70:71]
	v_fma_f64 v[70:71], v[86:87], s[22:23], -v[88:89]
	v_add_f64 v[74:75], v[80:81], v[74:75]
	v_add_f64 v[24:25], v[24:25], v[72:73]
	v_fma_f64 v[72:73], v[86:87], s[22:23], v[88:89]
	v_mul_f64 v[80:81], v[26:27], s[26:27]
	v_add_f64 v[76:77], v[76:77], v[78:79]
	v_mul_f64 v[78:79], v[26:27], s[18:19]
	v_add_f64 v[8:9], v[82:83], v[8:9]
	;; [unrolled: 2-line block ×4, first 2 shown]
	v_add_f64 v[0:1], v[72:73], v[12:13]
	v_fma_f64 v[12:13], v[86:87], s[4:5], -v[80:81]
	v_fma_f64 v[26:27], v[86:87], s[4:5], v[80:81]
	v_fma_f64 v[72:73], v[86:87], s[16:17], -v[78:79]
	v_fma_f64 v[80:81], v[86:87], s[6:7], -v[82:83]
	v_fma_f64 v[82:83], v[86:87], s[6:7], v[82:83]
	v_fma_f64 v[84:85], v[86:87], s[10:11], -v[10:11]
	v_fma_f64 v[78:79], v[86:87], s[16:17], v[78:79]
	v_fma_f64 v[86:87], v[86:87], s[10:11], v[10:11]
	v_add_f64 v[88:89], v[12:13], v[14:15]
	v_add_f64 v[14:15], v[26:27], v[18:19]
	;; [unrolled: 1-line block ×8, first 2 shown]
	v_mov_b32_e32 v40, 3
	v_lshlrev_b32_sdwa v17, v40, v17 dst_sel:DWORD dst_unused:UNUSED_PAD src0_sel:DWORD src1_sel:BYTE_0
	v_add3_u32 v68, v16, v17, v95
	ds_write2_b64 v68, v[42:43], v[70:71] offset1:17
	ds_write2_b64 v68, v[88:89], v[18:19] offset0:34 offset1:51
	ds_write2_b64 v68, v[26:27], v[24:25] offset0:68 offset1:85
	;; [unrolled: 1-line block ×4, first 2 shown]
	ds_write_b64 v68, v[0:1] offset:1360
	v_add_u32_e32 v69, 0x400, v120
	v_add_u32_e32 v70, 0x1000, v120
	s_waitcnt lgkmcnt(0)
	s_barrier
	ds_read2_b64 v[16:19], v69 offset0:59 offset1:246
	ds_read2_b64 v[24:27], v70 offset0:49 offset1:236
	ds_read_b64 v[40:41], v121
	ds_read_b64 v[42:43], v120 offset:7480
	s_and_saveexec_b64 s[38:39], s[2:3]
	s_cbranch_execz .LBB0_17
; %bb.16:
	v_add_u32_e32 v0, 0x200, v120
	ds_read2_b64 v[8:11], v0 offset0:38 offset1:225
	v_add_u32_e32 v0, 0xe00, v120
	ds_read2_b64 v[12:15], v0 offset0:28 offset1:215
	;; [unrolled: 2-line block ×3, first 2 shown]
.LBB0_17:
	s_or_b64 exec, exec, s[38:39]
	v_add_f64 v[71:72], v[4:5], v[64:65]
	v_add_f64 v[62:63], v[62:63], -v[66:67]
	v_add_f64 v[66:67], v[52:53], v[46:47]
	v_add_f64 v[58:59], v[58:59], -v[60:61]
	v_add_f64 v[60:61], v[50:51], v[48:49]
	v_add_f64 v[64:65], v[64:65], v[44:45]
	v_add_f64 v[54:55], v[54:55], -v[56:57]
	v_add_f64 v[34:35], v[34:35], -v[36:37]
	v_add_f64 v[52:53], v[71:72], v[52:53]
	v_mul_f64 v[56:57], v[62:63], s[20:21]
	v_mul_f64 v[71:72], v[62:63], s[34:35]
	;; [unrolled: 1-line block ×7, first 2 shown]
	v_add_f64 v[50:51], v[52:53], v[50:51]
	v_fma_f64 v[89:90], v[64:65], s[4:5], v[56:57]
	v_fma_f64 v[91:92], v[64:65], s[6:7], v[71:72]
	v_mul_f64 v[81:82], v[58:59], s[36:37]
	v_mul_f64 v[52:53], v[58:59], s[30:31]
	;; [unrolled: 1-line block ×5, first 2 shown]
	v_add_f64 v[50:51], v[50:51], v[32:33]
	v_fma_f64 v[56:57], v[64:65], s[4:5], -v[56:57]
	v_fma_f64 v[71:72], v[64:65], s[6:7], -v[71:72]
	v_fma_f64 v[98:99], v[64:65], s[10:11], v[73:74]
	v_fma_f64 v[73:74], v[64:65], s[10:11], -v[73:74]
	v_fma_f64 v[100:101], v[64:65], s[16:17], v[75:76]
	;; [unrolled: 2-line block ×3, first 2 shown]
	v_add_f64 v[50:51], v[50:51], v[20:21]
	v_fma_f64 v[62:63], v[64:65], s[22:23], -v[62:63]
	v_fma_f64 v[64:65], v[66:67], s[6:7], v[77:78]
	v_fma_f64 v[104:105], v[66:67], s[16:17], v[79:80]
	v_add_f64 v[89:90], v[4:5], v[89:90]
	v_add_f64 v[91:92], v[4:5], v[91:92]
	v_mul_f64 v[87:88], v[54:55], s[28:29]
	v_fma_f64 v[77:78], v[66:67], s[6:7], -v[77:78]
	v_add_f64 v[50:51], v[50:51], v[22:23]
	v_fma_f64 v[79:80], v[66:67], s[16:17], -v[79:80]
	v_fma_f64 v[106:107], v[66:67], s[22:23], v[81:82]
	v_fma_f64 v[81:82], v[66:67], s[22:23], -v[81:82]
	v_fma_f64 v[108:109], v[66:67], s[10:11], v[52:53]
	;; [unrolled: 2-line block ×3, first 2 shown]
	v_fma_f64 v[58:59], v[66:67], s[4:5], -v[58:59]
	v_add_f64 v[50:51], v[50:51], v[38:39]
	v_fma_f64 v[66:67], v[60:61], s[10:11], v[83:84]
	v_fma_f64 v[112:113], v[60:61], s[22:23], v[85:86]
	v_add_f64 v[56:57], v[4:5], v[56:57]
	v_add_f64 v[71:72], v[4:5], v[71:72]
	;; [unrolled: 1-line block ×12, first 2 shown]
	v_mul_f64 v[36:37], v[54:55], s[20:21]
	v_add_f64 v[46:47], v[48:49], v[46:47]
	v_add_f64 v[48:49], v[79:80], v[71:72]
	;; [unrolled: 1-line block ×4, first 2 shown]
	v_fma_f64 v[58:59], v[60:61], s[6:7], v[87:88]
	v_mul_f64 v[54:55], v[54:55], s[18:19]
	v_add_f64 v[32:33], v[32:33], v[38:39]
	v_mul_f64 v[38:39], v[34:35], s[18:19]
	v_add_f64 v[44:45], v[46:47], v[44:45]
	v_add_f64 v[46:47], v[66:67], v[62:63]
	v_add_f64 v[62:63], v[112:113], v[64:65]
	v_fma_f64 v[64:65], v[60:61], s[6:7], -v[87:88]
	v_fma_f64 v[83:84], v[60:61], s[10:11], -v[83:84]
	;; [unrolled: 1-line block ×3, first 2 shown]
	v_add_f64 v[56:57], v[77:78], v[56:57]
	v_add_f64 v[50:51], v[108:109], v[50:51]
	v_fma_f64 v[66:67], v[60:61], s[4:5], v[36:37]
	v_add_f64 v[58:59], v[58:59], v[71:72]
	v_mul_f64 v[71:72], v[34:35], s[30:31]
	v_fma_f64 v[36:37], v[60:61], s[4:5], -v[36:37]
	v_fma_f64 v[77:78], v[60:61], s[16:17], v[54:55]
	v_add_f64 v[64:65], v[64:65], v[73:74]
	v_fma_f64 v[54:55], v[60:61], s[16:17], -v[54:55]
	v_fma_f64 v[60:61], v[32:33], s[16:17], v[38:39]
	v_mul_f64 v[73:74], v[34:35], s[20:21]
	v_add_f64 v[52:53], v[52:53], v[75:76]
	v_add_f64 v[75:76], v[110:111], v[100:101]
	;; [unrolled: 1-line block ×5, first 2 shown]
	v_fma_f64 v[38:39], v[32:33], s[16:17], -v[38:39]
	v_fma_f64 v[66:67], v[32:33], s[10:11], v[71:72]
	v_add_f64 v[4:5], v[54:55], v[4:5]
	v_add_f64 v[46:47], v[60:61], v[46:47]
	v_mul_f64 v[54:55], v[34:35], s[24:25]
	v_add_f64 v[28:29], v[28:29], -v[30:31]
	v_fma_f64 v[30:31], v[32:33], s[10:11], -v[71:72]
	v_fma_f64 v[60:61], v[32:33], s[4:5], v[73:74]
	v_mul_f64 v[34:35], v[34:35], s[28:29]
	v_add_f64 v[36:37], v[36:37], v[52:53]
	v_add_f64 v[52:53], v[77:78], v[75:76]
	;; [unrolled: 1-line block ×4, first 2 shown]
	v_fma_f64 v[66:67], v[32:33], s[22:23], v[54:55]
	v_fma_f64 v[54:55], v[32:33], s[22:23], -v[54:55]
	v_add_f64 v[20:21], v[20:21], v[22:23]
	v_mul_f64 v[22:23], v[28:29], s[24:25]
	v_add_f64 v[30:31], v[30:31], v[48:49]
	v_add_f64 v[48:49], v[60:61], v[58:59]
	v_fma_f64 v[58:59], v[32:33], s[6:7], v[34:35]
	v_fma_f64 v[62:63], v[32:33], s[4:5], -v[73:74]
	v_fma_f64 v[32:33], v[32:33], s[6:7], -v[34:35]
	v_add_f64 v[34:35], v[54:55], v[36:37]
	v_mul_f64 v[54:55], v[28:29], s[26:27]
	v_fma_f64 v[36:37], v[20:21], s[22:23], v[22:23]
	v_fma_f64 v[22:23], v[20:21], s[22:23], -v[22:23]
	v_add_f64 v[50:51], v[66:67], v[50:51]
	v_add_f64 v[52:53], v[58:59], v[52:53]
	v_mul_f64 v[58:59], v[28:29], s[18:19]
	v_add_f64 v[60:61], v[62:63], v[64:65]
	v_mul_f64 v[62:63], v[28:29], s[28:29]
	v_mul_f64 v[28:29], v[28:29], s[14:15]
	v_add_f64 v[32:33], v[32:33], v[4:5]
	v_add_f64 v[36:37], v[36:37], v[46:47]
	;; [unrolled: 1-line block ×3, first 2 shown]
	v_fma_f64 v[22:23], v[20:21], s[4:5], v[54:55]
	v_fma_f64 v[38:39], v[20:21], s[4:5], -v[54:55]
	v_fma_f64 v[46:47], v[20:21], s[16:17], v[58:59]
	v_fma_f64 v[54:55], v[20:21], s[6:7], v[62:63]
	v_fma_f64 v[62:63], v[20:21], s[6:7], -v[62:63]
	v_fma_f64 v[64:65], v[20:21], s[10:11], v[28:29]
	v_fma_f64 v[28:29], v[20:21], s[10:11], -v[28:29]
	v_fma_f64 v[58:59], v[20:21], s[16:17], -v[58:59]
	v_add_f64 v[56:57], v[22:23], v[56:57]
	v_add_f64 v[30:31], v[38:39], v[30:31]
	;; [unrolled: 1-line block ×8, first 2 shown]
	s_waitcnt lgkmcnt(0)
	s_barrier
	ds_write2_b64 v68, v[44:45], v[36:37] offset1:17
	ds_write2_b64 v68, v[56:57], v[38:39] offset0:34 offset1:51
	ds_write2_b64 v68, v[46:47], v[34:35] offset0:68 offset1:85
	;; [unrolled: 1-line block ×4, first 2 shown]
	ds_write_b64 v68, v[4:5] offset:1360
	s_waitcnt lgkmcnt(0)
	s_barrier
	ds_read2_b64 v[32:35], v69 offset0:59 offset1:246
	ds_read2_b64 v[36:39], v70 offset0:49 offset1:236
	ds_read_b64 v[48:49], v121
	ds_read_b64 v[50:51], v120 offset:7480
	s_and_saveexec_b64 s[4:5], s[2:3]
	s_cbranch_execz .LBB0_19
; %bb.18:
	v_add_u32_e32 v4, 0x200, v120
	ds_read2_b64 v[20:23], v4 offset0:38 offset1:225
	v_add_u32_e32 v4, 0xe00, v120
	ds_read2_b64 v[28:31], v4 offset0:28 offset1:215
	;; [unrolled: 2-line block ×3, first 2 shown]
.LBB0_19:
	s_or_b64 exec, exec, s[4:5]
	s_and_saveexec_b64 s[4:5], s[0:1]
	s_cbranch_execz .LBB0_22
; %bb.20:
	v_mul_u32_u24_e32 v44, 5, v94
	v_lshlrev_b32_e32 v44, 4, v44
	global_load_dwordx4 v[52:55], v44, s[8:9] offset:2736
	global_load_dwordx4 v[56:59], v44, s[8:9] offset:2768
	;; [unrolled: 1-line block ×5, first 2 shown]
	s_mov_b32 s0, 0xe8584caa
	s_mov_b32 s1, 0x3febb67a
	s_mov_b32 s5, 0xbfebb67a
	s_mov_b32 s4, s0
	v_mov_b32_e32 v95, 0
	v_mov_b32_e32 v44, s13
	v_add_co_u32_e32 v46, vcc, s12, v96
	v_addc_co_u32_e32 v47, vcc, v44, v97, vcc
	v_lshlrev_b64 v[44:45], 4, v[94:95]
	s_movk_i32 s7, 0x1000
	v_add_co_u32_e32 v46, vcc, v46, v44
	v_addc_co_u32_e32 v47, vcc, v47, v45, vcc
	v_add_co_u32_e32 v44, vcc, s7, v46
	v_addc_co_u32_e32 v45, vcc, 0, v47, vcc
	;; [unrolled: 2-line block ×3, first 2 shown]
	s_movk_i32 s6, 0x2000
	s_waitcnt vmcnt(4) lgkmcnt(3)
	v_mul_f64 v[74:75], v[34:35], v[54:55]
	s_waitcnt vmcnt(3) lgkmcnt(2)
	v_mul_f64 v[76:77], v[38:39], v[58:59]
	s_waitcnt vmcnt(2)
	v_mul_f64 v[78:79], v[36:37], v[62:63]
	v_mul_f64 v[62:63], v[24:25], v[62:63]
	s_waitcnt vmcnt(1)
	v_mul_f64 v[80:81], v[42:43], v[66:67]
	s_waitcnt lgkmcnt(0)
	v_mul_f64 v[66:67], v[50:51], v[66:67]
	v_mul_f64 v[54:55], v[18:19], v[54:55]
	;; [unrolled: 1-line block ×3, first 2 shown]
	s_waitcnt vmcnt(0)
	v_mul_f64 v[82:83], v[32:33], v[70:71]
	v_mul_f64 v[70:71], v[16:17], v[70:71]
	v_fma_f64 v[24:25], v[24:25], v[60:61], -v[78:79]
	v_fma_f64 v[36:37], v[36:37], v[60:61], v[62:63]
	v_fma_f64 v[50:51], v[50:51], v[64:65], v[80:81]
	v_fma_f64 v[42:43], v[42:43], v[64:65], -v[66:67]
	v_fma_f64 v[18:19], v[18:19], v[52:53], -v[74:75]
	;; [unrolled: 1-line block ×3, first 2 shown]
	v_fma_f64 v[34:35], v[34:35], v[52:53], v[54:55]
	v_fma_f64 v[38:39], v[38:39], v[56:57], v[58:59]
	v_fma_f64 v[16:17], v[16:17], v[68:69], -v[82:83]
	v_fma_f64 v[32:33], v[32:33], v[68:69], v[70:71]
	v_add_f64 v[53:54], v[36:37], v[50:51]
	v_add_f64 v[55:56], v[24:25], v[42:43]
	v_add_f64 v[61:62], v[36:37], -v[50:51]
	v_add_f64 v[63:64], v[24:25], -v[42:43]
	;; [unrolled: 1-line block ×3, first 2 shown]
	v_add_f64 v[59:60], v[34:35], v[38:39]
	v_add_f64 v[65:66], v[48:49], v[34:35]
	;; [unrolled: 1-line block ×3, first 2 shown]
	v_fma_f64 v[32:33], v[53:54], -0.5, v[32:33]
	v_fma_f64 v[53:54], v[55:56], -0.5, v[16:17]
	v_add_f64 v[55:56], v[18:19], v[26:27]
	v_add_f64 v[18:19], v[40:41], v[18:19]
	;; [unrolled: 1-line block ×3, first 2 shown]
	v_fma_f64 v[24:25], v[59:60], -0.5, v[48:49]
	v_add_f64 v[34:35], v[34:35], -v[38:39]
	v_add_f64 v[36:37], v[36:37], v[50:51]
	v_fma_f64 v[48:49], v[63:64], s[0:1], v[32:33]
	v_fma_f64 v[59:60], v[61:62], s[0:1], v[53:54]
	;; [unrolled: 1-line block ×4, first 2 shown]
	v_fma_f64 v[40:41], v[55:56], -0.5, v[40:41]
	v_add_f64 v[50:51], v[18:19], v[26:27]
	v_fma_f64 v[61:62], v[57:58], s[0:1], v[24:25]
	v_fma_f64 v[57:58], v[57:58], s[4:5], v[24:25]
	v_add_f64 v[42:43], v[16:17], v[42:43]
	v_mul_f64 v[26:27], v[59:60], s[4:5]
	v_mul_f64 v[24:25], v[32:33], s[0:1]
	v_mul_f64 v[16:17], v[48:49], -0.5
	v_mul_f64 v[55:56], v[53:54], -0.5
	v_add_f64 v[38:39], v[65:66], v[38:39]
	v_fma_f64 v[67:68], v[34:35], s[0:1], v[40:41]
	v_fma_f64 v[63:64], v[34:35], s[4:5], v[40:41]
	v_add_co_u32_e32 v52, vcc, 0x3000, v46
	v_fma_f64 v[65:66], v[32:33], 0.5, v[26:27]
	v_fma_f64 v[59:60], v[59:60], 0.5, v[24:25]
	v_fma_f64 v[53:54], v[53:54], s[4:5], v[16:17]
	v_fma_f64 v[55:56], v[48:49], s[0:1], v[55:56]
	v_add_f64 v[26:27], v[38:39], v[36:37]
	v_add_f64 v[24:25], v[50:51], v[42:43]
	v_add_f64 v[18:19], v[38:39], -v[36:37]
	v_add_f64 v[16:17], v[50:51], -v[42:43]
	v_add_f64 v[50:51], v[57:58], v[65:66]
	v_add_f64 v[48:49], v[67:68], v[59:60]
	;; [unrolled: 1-line block ×4, first 2 shown]
	v_add_f64 v[38:39], v[57:58], -v[65:66]
	v_add_f64 v[36:37], v[67:68], -v[59:60]
	;; [unrolled: 1-line block ×4, first 2 shown]
	v_addc_co_u32_e32 v53, vcc, 0, v47, vcc
	global_store_dwordx4 v[46:47], v[24:27], off
	global_store_dwordx4 v[72:73], v[16:19], off offset:784
	global_store_dwordx4 v[46:47], v[48:51], off offset:2992
	;; [unrolled: 1-line block ×5, first 2 shown]
	s_and_b64 exec, exec, s[2:3]
	s_cbranch_execz .LBB0_22
; %bb.21:
	v_mov_b32_e32 v16, 0xffffffab
	v_mov_b32_e32 v17, 0x66
	v_cndmask_b32_e64 v16, v16, v17, s[2:3]
	v_add_u32_e32 v16, v94, v16
	v_mul_i32_i24_e32 v94, 5, v16
	v_lshlrev_b64 v[16:17], 4, v[94:95]
	v_mov_b32_e32 v18, s9
	v_add_co_u32_e32 v48, vcc, s8, v16
	v_addc_co_u32_e32 v49, vcc, v18, v17, vcc
	global_load_dwordx4 v[16:19], v[48:49], off offset:2720
	global_load_dwordx4 v[24:27], v[48:49], off offset:2736
	;; [unrolled: 1-line block ×5, first 2 shown]
	v_add_co_u32_e32 v48, vcc, s6, v46
	v_addc_co_u32_e32 v49, vcc, 0, v47, vcc
	v_add_co_u32_e32 v50, vcc, 0x3000, v46
	v_addc_co_u32_e32 v51, vcc, 0, v47, vcc
	s_waitcnt vmcnt(4)
	v_mul_f64 v[52:53], v[22:23], v[18:19]
	s_waitcnt vmcnt(3)
	v_mul_f64 v[54:55], v[28:29], v[26:27]
	v_mul_f64 v[26:27], v[12:13], v[26:27]
	s_waitcnt vmcnt(2)
	v_mul_f64 v[56:57], v[30:31], v[34:35]
	;; [unrolled: 3-line block ×3, first 2 shown]
	v_mul_f64 v[38:39], v[6:7], v[38:39]
	v_mul_f64 v[18:19], v[10:11], v[18:19]
	s_waitcnt vmcnt(0)
	v_mul_f64 v[60:61], v[4:5], v[42:43]
	v_fma_f64 v[12:13], v[12:13], v[24:25], -v[54:55]
	v_fma_f64 v[24:25], v[28:29], v[24:25], v[26:27]
	v_fma_f64 v[14:15], v[14:15], v[32:33], -v[56:57]
	v_fma_f64 v[26:27], v[30:31], v[32:33], v[34:35]
	v_fma_f64 v[6:7], v[6:7], v[36:37], v[58:59]
	v_fma_f64 v[2:3], v[2:3], v[36:37], -v[38:39]
	v_mul_f64 v[42:43], v[0:1], v[42:43]
	v_fma_f64 v[0:1], v[0:1], v[40:41], -v[60:61]
	v_fma_f64 v[10:11], v[10:11], v[16:17], -v[52:53]
	v_fma_f64 v[16:17], v[22:23], v[16:17], v[18:19]
	v_add_f64 v[29:30], v[8:9], v[12:13]
	v_add_f64 v[35:36], v[20:21], v[24:25]
	v_add_f64 v[18:19], v[26:27], v[6:7]
	v_add_f64 v[22:23], v[14:15], v[2:3]
	v_fma_f64 v[4:5], v[4:5], v[40:41], v[42:43]
	v_add_f64 v[31:32], v[12:13], v[0:1]
	v_add_f64 v[37:38], v[26:27], -v[6:7]
	v_add_f64 v[39:40], v[14:15], -v[2:3]
	;; [unrolled: 1-line block ×3, first 2 shown]
	v_add_co_u32_e32 v28, vcc, 0x4000, v46
	v_fma_f64 v[18:19], v[18:19], -0.5, v[16:17]
	v_fma_f64 v[22:23], v[22:23], -0.5, v[10:11]
	v_add_f64 v[33:34], v[24:25], -v[4:5]
	v_add_f64 v[24:25], v[24:25], v[4:5]
	v_add_f64 v[10:11], v[10:11], v[14:15]
	;; [unrolled: 1-line block ×4, first 2 shown]
	v_fma_f64 v[0:1], v[31:32], -0.5, v[8:9]
	v_fma_f64 v[8:9], v[39:40], s[4:5], v[18:19]
	v_fma_f64 v[26:27], v[37:38], s[4:5], v[22:23]
	;; [unrolled: 1-line block ×4, first 2 shown]
	v_add_f64 v[29:30], v[35:36], v[4:5]
	v_fma_f64 v[4:5], v[24:25], -0.5, v[20:21]
	v_add_f64 v[10:11], v[10:11], v[2:3]
	v_add_f64 v[6:7], v[14:15], v[6:7]
	v_mul_f64 v[2:3], v[8:9], s[0:1]
	v_mul_f64 v[14:15], v[26:27], -0.5
	v_mul_f64 v[20:21], v[22:23], s[4:5]
	v_mul_f64 v[24:25], v[18:19], -0.5
	v_fma_f64 v[31:32], v[33:34], s[0:1], v[0:1]
	v_fma_f64 v[35:36], v[12:13], s[4:5], v[4:5]
	;; [unrolled: 1-line block ×4, first 2 shown]
	v_fma_f64 v[22:23], v[22:23], 0.5, v[2:3]
	v_fma_f64 v[18:19], v[18:19], s[0:1], v[14:15]
	v_fma_f64 v[39:40], v[8:9], 0.5, v[20:21]
	v_fma_f64 v[24:25], v[26:27], s[4:5], v[24:25]
	v_add_f64 v[0:1], v[16:17], v[10:11]
	v_add_f64 v[2:3], v[29:30], v[6:7]
	v_add_f64 v[4:5], v[16:17], -v[10:11]
	v_add_f64 v[6:7], v[29:30], -v[6:7]
	v_add_f64 v[8:9], v[31:32], v[22:23]
	v_add_f64 v[12:13], v[33:34], v[18:19]
	;; [unrolled: 1-line block ×4, first 2 shown]
	v_add_f64 v[16:17], v[31:32], -v[22:23]
	v_add_f64 v[20:21], v[33:34], -v[18:19]
	;; [unrolled: 1-line block ×4, first 2 shown]
	v_addc_co_u32_e32 v29, vcc, 0, v47, vcc
	global_store_dwordx4 v[46:47], v[0:3], off offset:1632
	global_store_dwordx4 v[48:49], v[4:7], off offset:2416
	;; [unrolled: 1-line block ×6, first 2 shown]
.LBB0_22:
	s_endpgm
	.section	.rodata,"a",@progbits
	.p2align	6, 0x0
	.amdhsa_kernel fft_rtc_fwd_len1122_factors_17_11_6_wgs_204_tpt_102_halfLds_dp_ip_CI_unitstride_sbrr_dirReg
		.amdhsa_group_segment_fixed_size 0
		.amdhsa_private_segment_fixed_size 0
		.amdhsa_kernarg_size 88
		.amdhsa_user_sgpr_count 6
		.amdhsa_user_sgpr_private_segment_buffer 1
		.amdhsa_user_sgpr_dispatch_ptr 0
		.amdhsa_user_sgpr_queue_ptr 0
		.amdhsa_user_sgpr_kernarg_segment_ptr 1
		.amdhsa_user_sgpr_dispatch_id 0
		.amdhsa_user_sgpr_flat_scratch_init 0
		.amdhsa_user_sgpr_private_segment_size 0
		.amdhsa_uses_dynamic_stack 0
		.amdhsa_system_sgpr_private_segment_wavefront_offset 0
		.amdhsa_system_sgpr_workgroup_id_x 1
		.amdhsa_system_sgpr_workgroup_id_y 0
		.amdhsa_system_sgpr_workgroup_id_z 0
		.amdhsa_system_sgpr_workgroup_info 0
		.amdhsa_system_vgpr_workitem_id 0
		.amdhsa_next_free_vgpr 157
		.amdhsa_next_free_sgpr 58
		.amdhsa_reserve_vcc 1
		.amdhsa_reserve_flat_scratch 0
		.amdhsa_float_round_mode_32 0
		.amdhsa_float_round_mode_16_64 0
		.amdhsa_float_denorm_mode_32 3
		.amdhsa_float_denorm_mode_16_64 3
		.amdhsa_dx10_clamp 1
		.amdhsa_ieee_mode 1
		.amdhsa_fp16_overflow 0
		.amdhsa_exception_fp_ieee_invalid_op 0
		.amdhsa_exception_fp_denorm_src 0
		.amdhsa_exception_fp_ieee_div_zero 0
		.amdhsa_exception_fp_ieee_overflow 0
		.amdhsa_exception_fp_ieee_underflow 0
		.amdhsa_exception_fp_ieee_inexact 0
		.amdhsa_exception_int_div_zero 0
	.end_amdhsa_kernel
	.text
.Lfunc_end0:
	.size	fft_rtc_fwd_len1122_factors_17_11_6_wgs_204_tpt_102_halfLds_dp_ip_CI_unitstride_sbrr_dirReg, .Lfunc_end0-fft_rtc_fwd_len1122_factors_17_11_6_wgs_204_tpt_102_halfLds_dp_ip_CI_unitstride_sbrr_dirReg
                                        ; -- End function
	.section	.AMDGPU.csdata,"",@progbits
; Kernel info:
; codeLenInByte = 13084
; NumSgprs: 62
; NumVgprs: 157
; ScratchSize: 0
; MemoryBound: 1
; FloatMode: 240
; IeeeMode: 1
; LDSByteSize: 0 bytes/workgroup (compile time only)
; SGPRBlocks: 7
; VGPRBlocks: 39
; NumSGPRsForWavesPerEU: 62
; NumVGPRsForWavesPerEU: 157
; Occupancy: 1
; WaveLimiterHint : 1
; COMPUTE_PGM_RSRC2:SCRATCH_EN: 0
; COMPUTE_PGM_RSRC2:USER_SGPR: 6
; COMPUTE_PGM_RSRC2:TRAP_HANDLER: 0
; COMPUTE_PGM_RSRC2:TGID_X_EN: 1
; COMPUTE_PGM_RSRC2:TGID_Y_EN: 0
; COMPUTE_PGM_RSRC2:TGID_Z_EN: 0
; COMPUTE_PGM_RSRC2:TIDIG_COMP_CNT: 0
	.type	__hip_cuid_15cdc9827b16512a,@object ; @__hip_cuid_15cdc9827b16512a
	.section	.bss,"aw",@nobits
	.globl	__hip_cuid_15cdc9827b16512a
__hip_cuid_15cdc9827b16512a:
	.byte	0                               ; 0x0
	.size	__hip_cuid_15cdc9827b16512a, 1

	.ident	"AMD clang version 19.0.0git (https://github.com/RadeonOpenCompute/llvm-project roc-6.4.0 25133 c7fe45cf4b819c5991fe208aaa96edf142730f1d)"
	.section	".note.GNU-stack","",@progbits
	.addrsig
	.addrsig_sym __hip_cuid_15cdc9827b16512a
	.amdgpu_metadata
---
amdhsa.kernels:
  - .args:
      - .actual_access:  read_only
        .address_space:  global
        .offset:         0
        .size:           8
        .value_kind:     global_buffer
      - .offset:         8
        .size:           8
        .value_kind:     by_value
      - .actual_access:  read_only
        .address_space:  global
        .offset:         16
        .size:           8
        .value_kind:     global_buffer
      - .actual_access:  read_only
        .address_space:  global
        .offset:         24
        .size:           8
        .value_kind:     global_buffer
      - .offset:         32
        .size:           8
        .value_kind:     by_value
      - .actual_access:  read_only
        .address_space:  global
        .offset:         40
        .size:           8
        .value_kind:     global_buffer
      - .actual_access:  read_only
        .address_space:  global
        .offset:         48
        .size:           8
        .value_kind:     global_buffer
      - .offset:         56
        .size:           4
        .value_kind:     by_value
      - .actual_access:  read_only
        .address_space:  global
        .offset:         64
        .size:           8
        .value_kind:     global_buffer
      - .actual_access:  read_only
        .address_space:  global
        .offset:         72
        .size:           8
        .value_kind:     global_buffer
      - .address_space:  global
        .offset:         80
        .size:           8
        .value_kind:     global_buffer
    .group_segment_fixed_size: 0
    .kernarg_segment_align: 8
    .kernarg_segment_size: 88
    .language:       OpenCL C
    .language_version:
      - 2
      - 0
    .max_flat_workgroup_size: 204
    .name:           fft_rtc_fwd_len1122_factors_17_11_6_wgs_204_tpt_102_halfLds_dp_ip_CI_unitstride_sbrr_dirReg
    .private_segment_fixed_size: 0
    .sgpr_count:     62
    .sgpr_spill_count: 0
    .symbol:         fft_rtc_fwd_len1122_factors_17_11_6_wgs_204_tpt_102_halfLds_dp_ip_CI_unitstride_sbrr_dirReg.kd
    .uniform_work_group_size: 1
    .uses_dynamic_stack: false
    .vgpr_count:     157
    .vgpr_spill_count: 0
    .wavefront_size: 64
amdhsa.target:   amdgcn-amd-amdhsa--gfx906
amdhsa.version:
  - 1
  - 2
...

	.end_amdgpu_metadata
